;; amdgpu-corpus repo=ROCm/rocFFT kind=compiled arch=gfx1100 opt=O3
	.text
	.amdgcn_target "amdgcn-amd-amdhsa--gfx1100"
	.amdhsa_code_object_version 6
	.protected	bluestein_single_fwd_len1584_dim1_dp_op_CI_CI ; -- Begin function bluestein_single_fwd_len1584_dim1_dp_op_CI_CI
	.globl	bluestein_single_fwd_len1584_dim1_dp_op_CI_CI
	.p2align	8
	.type	bluestein_single_fwd_len1584_dim1_dp_op_CI_CI,@function
bluestein_single_fwd_len1584_dim1_dp_op_CI_CI: ; @bluestein_single_fwd_len1584_dim1_dp_op_CI_CI
; %bb.0:
	s_load_b128 s[8:11], s[0:1], 0x28
	v_mul_u32_u24_e32 v1, 0x175, v0
	s_mov_b32 s2, exec_lo
	v_mov_b32_e32 v230, 0
	s_delay_alu instid0(VALU_DEP_2) | instskip(NEXT) | instid1(VALU_DEP_1)
	v_lshrrev_b32_e32 v1, 16, v1
	v_add_nc_u32_e32 v229, s15, v1
	s_waitcnt lgkmcnt(0)
	s_delay_alu instid0(VALU_DEP_1)
	v_cmpx_gt_u64_e64 s[8:9], v[229:230]
	s_cbranch_execz .LBB0_39
; %bb.1:
	s_clause 0x1
	s_load_b128 s[4:7], s[0:1], 0x18
	s_load_b64 s[2:3], s[0:1], 0x0
	v_mul_lo_u16 v1, 0xb0, v1
	s_delay_alu instid0(VALU_DEP_1) | instskip(NEXT) | instid1(VALU_DEP_1)
	v_sub_nc_u16 v98, v0, v1
	v_and_b32_e32 v232, 0xffff, v98
	s_waitcnt lgkmcnt(0)
	s_load_b128 s[12:15], s[4:5], 0x0
	s_waitcnt lgkmcnt(0)
	s_delay_alu instid0(VALU_DEP_1) | instskip(SKIP_4) | instid1(VALU_DEP_2)
	v_mad_u64_u32 v[28:29], null, s12, v232, 0
	v_mad_u64_u32 v[26:27], null, s14, v229, 0
	s_mul_hi_u32 s5, s12, 0x18c
	s_mul_hi_u32 s9, s12, 0xfffffc0c
	s_mul_i32 s8, s13, 0xfffffc0c
	v_mov_b32_e32 v9, v29
	s_delay_alu instid0(VALU_DEP_2) | instskip(SKIP_4) | instid1(VALU_DEP_1)
	v_dual_mov_b32 v8, v27 :: v_dual_lshlrev_b32 v223, 4, v232
	s_clause 0x1
	global_load_b128 v[235:238], v223, s[2:3]
	global_load_b128 v[248:251], v223, s[2:3] offset:2816
	v_add_co_u32 v227, s4, s2, v223
	v_add_co_ci_u32_e64 v228, null, s3, 0, s4
	v_mad_u64_u32 v[32:33], null, s15, v229, v[8:9]
	s_delay_alu instid0(VALU_DEP_3) | instskip(NEXT) | instid1(VALU_DEP_3)
	v_add_co_u32 v233, vcc_lo, 0x1000, v227
	v_add_co_ci_u32_e32 v234, vcc_lo, 0, v228, vcc_lo
	v_add_co_u32 v24, vcc_lo, 0x3000, v227
	v_add_co_ci_u32_e32 v25, vcc_lo, 0, v228, vcc_lo
	s_clause 0x1
	global_load_b128 v[10:13], v[233:234], off offset:2240
	global_load_b128 v[0:3], v[24:25], off offset:384
	v_mov_b32_e32 v27, v32
	v_add_co_u32 v244, vcc_lo, 0x4000, v227
	v_add_co_ci_u32_e32 v245, vcc_lo, 0, v228, vcc_lo
	v_add_co_u32 v239, vcc_lo, 0x2000, v227
	s_delay_alu instid0(VALU_DEP_4) | instskip(SKIP_3) | instid1(VALU_DEP_4)
	v_lshlrev_b64 v[26:27], 4, v[26:27]
	v_add_co_ci_u32_e32 v240, vcc_lo, 0, v228, vcc_lo
	v_add_co_u32 v30, vcc_lo, 0x5000, v227
	v_add_co_ci_u32_e32 v31, vcc_lo, 0, v228, vcc_lo
	v_add_co_u32 v26, vcc_lo, s10, v26
	v_add_co_ci_u32_e32 v27, vcc_lo, s11, v27, vcc_lo
	s_mul_i32 s3, s13, 0x18c
	s_mul_i32 s2, s12, 0x18c
	s_add_i32 s3, s5, s3
	s_sub_i32 s5, s9, s12
	s_lshl_b64 s[10:11], s[2:3], 4
	s_mul_i32 s4, s12, 0xfffffc0c
	s_add_i32 s5, s5, s8
	s_clause 0x1
	global_load_b128 v[4:7], v[244:245], off offset:2624
	global_load_b128 v[252:255], v[239:240], off offset:960
	s_lshl_b64 s[2:3], s[4:5], 4
	s_waitcnt vmcnt(3)
	v_mad_u64_u32 v[33:34], null, s13, v232, v[9:10]
	s_delay_alu instid0(VALU_DEP_1) | instskip(NEXT) | instid1(VALU_DEP_1)
	v_mov_b32_e32 v29, v33
	v_lshlrev_b64 v[28:29], 4, v[28:29]
	s_delay_alu instid0(VALU_DEP_1) | instskip(NEXT) | instid1(VALU_DEP_2)
	v_add_co_u32 v26, vcc_lo, v26, v28
	v_add_co_ci_u32_e32 v27, vcc_lo, v27, v29, vcc_lo
	s_delay_alu instid0(VALU_DEP_2) | instskip(NEXT) | instid1(VALU_DEP_2)
	v_add_co_u32 v28, vcc_lo, v26, s10
	v_add_co_ci_u32_e32 v29, vcc_lo, s11, v27, vcc_lo
	s_clause 0x1
	global_load_b128 v[34:37], v[26:27], off
	global_load_b128 v[38:41], v[28:29], off
	v_add_co_u32 v32, vcc_lo, v28, s10
	v_add_co_ci_u32_e32 v33, vcc_lo, s11, v29, vcc_lo
	s_delay_alu instid0(VALU_DEP_2) | instskip(NEXT) | instid1(VALU_DEP_2)
	v_add_co_u32 v46, vcc_lo, v32, s10
	v_add_co_ci_u32_e32 v47, vcc_lo, s11, v33, vcc_lo
	global_load_b128 v[42:45], v[32:33], off
	v_add_co_u32 v26, vcc_lo, v46, s2
	v_add_co_ci_u32_e32 v27, vcc_lo, s3, v47, vcc_lo
	s_clause 0x1
	global_load_b128 v[46:49], v[46:47], off
	global_load_b128 v[50:53], v[26:27], off
	v_add_co_u32 v28, vcc_lo, v26, s10
	v_add_co_ci_u32_e32 v29, vcc_lo, s11, v27, vcc_lo
	s_delay_alu instid0(VALU_DEP_2) | instskip(NEXT) | instid1(VALU_DEP_2)
	v_add_co_u32 v58, vcc_lo, v28, s10
	v_add_co_ci_u32_e32 v59, vcc_lo, s11, v29, vcc_lo
	global_load_b128 v[54:57], v[28:29], off
	v_add_co_u32 v32, vcc_lo, v58, s10
	v_add_co_ci_u32_e32 v33, vcc_lo, s11, v59, vcc_lo
	global_load_b128 v[14:17], v[24:25], off offset:3200
	global_load_b128 v[58:61], v[58:59], off
	global_load_b128 v[18:21], v[30:31], off offset:1344
	global_load_b128 v[62:65], v[32:33], off
	scratch_store_b128 off, v[10:13], off offset:32 ; 16-byte Folded Spill
	s_waitcnt vmcnt(12)
	scratch_store_b128 off, v[0:3], off     ; 16-byte Folded Spill
	s_waitcnt vmcnt(11)
	scratch_store_b128 off, v[4:7], off offset:16 ; 16-byte Folded Spill
	v_cmp_gt_u16_e32 vcc_lo, 44, v98
	s_waitcnt vmcnt(9)
	v_mul_f64 v[66:67], v[36:37], v[237:238]
	v_mul_f64 v[68:69], v[34:35], v[237:238]
	s_waitcnt vmcnt(8)
	v_mul_f64 v[70:71], v[40:41], v[12:13]
	v_mul_f64 v[72:73], v[38:39], v[12:13]
	;; [unrolled: 3-line block ×3, first 2 shown]
	s_waitcnt vmcnt(6)
	v_mul_f64 v[78:79], v[48:49], v[6:7]
	s_waitcnt vmcnt(5)
	v_mul_f64 v[80:81], v[52:53], v[250:251]
	v_mul_f64 v[82:83], v[50:51], v[250:251]
	;; [unrolled: 1-line block ×3, first 2 shown]
	s_waitcnt vmcnt(4)
	v_mul_f64 v[84:85], v[56:57], v[254:255]
	v_mul_f64 v[86:87], v[54:55], v[254:255]
	s_waitcnt vmcnt(3)
	scratch_store_b128 off, v[14:17], off offset:48 ; 16-byte Folded Spill
	s_waitcnt vmcnt(2)
	v_mul_f64 v[90:91], v[60:61], v[16:17]
	v_mul_f64 v[92:93], v[58:59], v[16:17]
	s_waitcnt vmcnt(0)
	v_mul_f64 v[94:95], v[64:65], v[20:21]
	v_mul_f64 v[96:97], v[62:63], v[20:21]
	scratch_store_b128 off, v[18:21], off offset:64 ; 16-byte Folded Spill
	s_load_b64 s[8:9], s[0:1], 0x38
	s_load_b128 s[4:7], s[6:7], 0x0
	v_fma_f64 v[34:35], v[34:35], v[235:236], v[66:67]
	v_fma_f64 v[36:37], v[36:37], v[235:236], -v[68:69]
	v_fma_f64 v[38:39], v[38:39], v[10:11], v[70:71]
	v_fma_f64 v[40:41], v[40:41], v[10:11], -v[72:73]
	v_fma_f64 v[42:43], v[42:43], v[0:1], v[74:75]
	v_fma_f64 v[44:45], v[44:45], v[0:1], -v[76:77]
	v_fma_f64 v[46:47], v[46:47], v[4:5], v[78:79]
	v_fma_f64 v[50:51], v[50:51], v[248:249], v[80:81]
	v_fma_f64 v[52:53], v[52:53], v[248:249], -v[82:83]
	v_fma_f64 v[48:49], v[48:49], v[4:5], -v[88:89]
	v_fma_f64 v[54:55], v[54:55], v[252:253], v[84:85]
	v_fma_f64 v[56:57], v[56:57], v[252:253], -v[86:87]
	ds_store_b128 v223, v[34:37]
	ds_store_b128 v223, v[50:53] offset:2816
	ds_store_b128 v223, v[38:41] offset:6336
	;; [unrolled: 1-line block ×3, first 2 shown]
	v_fma_f64 v[58:59], v[58:59], v[14:15], v[90:91]
	v_fma_f64 v[60:61], v[60:61], v[14:15], -v[92:93]
	v_fma_f64 v[62:63], v[62:63], v[18:19], v[94:95]
	v_fma_f64 v[64:65], v[64:65], v[18:19], -v[96:97]
	ds_store_b128 v223, v[42:45] offset:12672
	ds_store_b128 v223, v[58:61] offset:15488
	ds_store_b128 v223, v[46:49] offset:19008
	ds_store_b128 v223, v[62:65] offset:21824
	s_and_saveexec_b32 s12, vcc_lo
	s_cbranch_execz .LBB0_3
; %bb.2:
	v_add_co_u32 v36, s2, v32, s2
	s_delay_alu instid0(VALU_DEP_1) | instskip(NEXT) | instid1(VALU_DEP_2)
	v_add_co_ci_u32_e64 v37, s2, s3, v33, s2
	v_add_co_u32 v44, s2, v36, s10
	s_delay_alu instid0(VALU_DEP_1) | instskip(SKIP_4) | instid1(VALU_DEP_1)
	v_add_co_ci_u32_e64 v45, s2, s11, v37, s2
	global_load_b128 v[32:35], v[233:234], off offset:1536
	global_load_b128 v[36:39], v[36:37], off
	global_load_b128 v[40:43], v[44:45], off
	v_add_co_u32 v48, s2, v44, s10
	v_add_co_ci_u32_e64 v49, s2, s11, v45, s2
	v_add_co_u32 v56, s2, 0x6000, v227
	s_delay_alu instid0(VALU_DEP_1) | instskip(NEXT) | instid1(VALU_DEP_4)
	v_add_co_ci_u32_e64 v57, s2, 0, v228, s2
	v_add_co_u32 v60, s2, v48, s10
	s_delay_alu instid0(VALU_DEP_1)
	v_add_co_ci_u32_e64 v61, s2, s11, v49, s2
	global_load_b128 v[44:47], v[239:240], off offset:3776
	global_load_b128 v[48:51], v[48:49], off
	s_clause 0x1
	global_load_b128 v[52:55], v[244:245], off offset:1920
	global_load_b128 v[56:59], v[56:57], off offset:64
	global_load_b128 v[60:63], v[60:61], off
	s_waitcnt vmcnt(6)
	v_mul_f64 v[64:65], v[38:39], v[34:35]
	v_mul_f64 v[66:67], v[36:37], v[34:35]
	s_waitcnt vmcnt(4)
	v_mul_f64 v[68:69], v[42:43], v[46:47]
	v_mul_f64 v[46:47], v[40:41], v[46:47]
	;; [unrolled: 3-line block ×4, first 2 shown]
	v_fma_f64 v[34:35], v[36:37], v[32:33], v[64:65]
	v_fma_f64 v[36:37], v[38:39], v[32:33], -v[66:67]
	v_fma_f64 v[38:39], v[40:41], v[44:45], v[68:69]
	v_fma_f64 v[40:41], v[42:43], v[44:45], -v[46:47]
	;; [unrolled: 2-line block ×4, first 2 shown]
	ds_store_b128 v223, v[34:37] offset:5632
	ds_store_b128 v223, v[38:41] offset:11968
	;; [unrolled: 1-line block ×4, first 2 shown]
.LBB0_3:
	s_or_b32 exec_lo, exec_lo, s12
	s_waitcnt lgkmcnt(0)
	s_waitcnt_vscnt null, 0x0
	s_barrier
	buffer_gl0_inv
	ds_load_b128 v[32:35], v223
	ds_load_b128 v[36:39], v223 offset:2816
	ds_load_b128 v[44:47], v223 offset:6336
	;; [unrolled: 1-line block ×7, first 2 shown]
                                        ; implicit-def: $vgpr48_vgpr49
                                        ; implicit-def: $vgpr68_vgpr69
                                        ; implicit-def: $vgpr60_vgpr61
                                        ; implicit-def: $vgpr52_vgpr53
	s_and_saveexec_b32 s2, vcc_lo
	s_cbranch_execz .LBB0_5
; %bb.4:
	ds_load_b128 v[48:51], v223 offset:5632
	ds_load_b128 v[52:55], v223 offset:11968
	;; [unrolled: 1-line block ×4, first 2 shown]
.LBB0_5:
	s_or_b32 exec_lo, exec_lo, s2
	s_waitcnt lgkmcnt(3)
	v_add_f64 v[76:77], v[32:33], -v[76:77]
	v_add_f64 v[78:79], v[34:35], -v[78:79]
	s_waitcnt lgkmcnt(1)
	v_add_f64 v[72:73], v[44:45], -v[72:73]
	v_add_f64 v[74:75], v[46:47], -v[74:75]
	;; [unrolled: 1-line block ×4, first 2 shown]
	s_waitcnt lgkmcnt(0)
	v_add_f64 v[60:61], v[52:53], -v[68:69]
	v_add_f64 v[62:63], v[54:55], -v[70:71]
	;; [unrolled: 1-line block ×6, first 2 shown]
	s_load_b64 s[2:3], s[0:1], 0x8
	v_add_co_u32 v243, null, 0x160, v232
	s_waitcnt lgkmcnt(0)
	s_barrier
	buffer_gl0_inv
	v_lshlrev_b32_e32 v17, 6, v243
	v_fma_f64 v[32:33], v[32:33], 2.0, -v[76:77]
	v_fma_f64 v[34:35], v[34:35], 2.0, -v[78:79]
	;; [unrolled: 1-line block ×12, first 2 shown]
	v_add_f64 v[36:37], v[76:77], -v[74:75]
	v_add_f64 v[38:39], v[78:79], v[72:73]
	v_add_f64 v[48:49], v[80:81], -v[58:59]
	v_add_f64 v[50:51], v[82:83], v[56:57]
	v_add_f64 v[52:53], v[32:33], -v[44:45]
	v_add_f64 v[54:55], v[34:35], -v[46:47]
	;; [unrolled: 1-line block ×3, first 2 shown]
	v_add_f64 v[46:47], v[86:87], v[60:61]
	v_add_f64 v[60:61], v[92:93], -v[64:65]
	v_add_f64 v[62:63], v[94:95], -v[66:67]
	;; [unrolled: 1-line block ×4, first 2 shown]
	v_fma_f64 v[64:65], v[76:77], 2.0, -v[36:37]
	v_fma_f64 v[66:67], v[78:79], 2.0, -v[38:39]
	;; [unrolled: 1-line block ×4, first 2 shown]
	v_lshlrev_b16 v80, 2, v232
	s_delay_alu instid0(VALU_DEP_1) | instskip(NEXT) | instid1(VALU_DEP_1)
	v_and_b32_e32 v80, 0xffff, v80
	v_lshlrev_b32_e32 v19, 4, v80
	v_fma_f64 v[72:73], v[32:33], 2.0, -v[52:53]
	v_fma_f64 v[74:75], v[34:35], 2.0, -v[54:55]
	;; [unrolled: 1-line block ×6, first 2 shown]
	v_add_co_u32 v84, null, 0xb0, v232
	v_fma_f64 v[76:77], v[88:89], 2.0, -v[56:57]
	v_fma_f64 v[78:79], v[90:91], 2.0, -v[58:59]
	s_delay_alu instid0(VALU_DEP_3)
	v_lshlrev_b32_e32 v24, 6, v84
	ds_store_b128 v19, v[52:55] offset:32
	ds_store_b128 v19, v[36:39] offset:48
	ds_store_b128 v19, v[72:75]
	ds_store_b128 v19, v[64:67] offset:16
	ds_store_b128 v24, v[76:79]
	ds_store_b128 v24, v[68:71] offset:16
	ds_store_b128 v24, v[56:59] offset:32
	;; [unrolled: 1-line block ×3, first 2 shown]
	s_and_saveexec_b32 s0, vcc_lo
	s_cbranch_execz .LBB0_7
; %bb.6:
	ds_store_b128 v17, v[32:35]
	ds_store_b128 v17, v[40:43] offset:16
	ds_store_b128 v17, v[60:63] offset:32
	;; [unrolled: 1-line block ×3, first 2 shown]
.LBB0_7:
	s_or_b32 exec_lo, exec_lo, s0
	s_waitcnt lgkmcnt(0)
	s_barrier
	buffer_gl0_inv
	ds_load_b128 v[52:55], v223
	ds_load_b128 v[56:59], v223 offset:2816
	ds_load_b128 v[72:75], v223 offset:12672
	;; [unrolled: 1-line block ×7, first 2 shown]
	v_cmp_gt_u16_e64 s0, 0x58, v232
	s_delay_alu instid0(VALU_DEP_1)
	s_and_saveexec_b32 s1, s0
	s_cbranch_execz .LBB0_9
; %bb.8:
	ds_load_b128 v[32:35], v223 offset:11264
	ds_load_b128 v[40:43], v223 offset:23936
.LBB0_9:
	s_or_b32 exec_lo, exec_lo, s1
	v_and_b32_e32 v18, 3, v232
	v_lshlrev_b32_e32 v31, 1, v232
	v_lshlrev_b32_e32 v30, 1, v84
	v_add_co_u32 v84, null, 0x2c0, v232
	s_delay_alu instid0(VALU_DEP_4) | instskip(NEXT) | instid1(VALU_DEP_2)
	v_lshlrev_b32_e32 v36, 4, v18
	v_lshlrev_b32_e32 v16, 1, v84
	global_load_b128 v[36:39], v36, s[2:3]
	s_waitcnt vmcnt(0) lgkmcnt(0)
	s_barrier
	buffer_gl0_inv
	v_mul_f64 v[85:86], v[74:75], v[38:39]
	v_mul_f64 v[87:88], v[72:73], v[38:39]
	;; [unrolled: 1-line block ×10, first 2 shown]
	v_fma_f64 v[72:73], v[72:73], v[36:37], -v[85:86]
	v_fma_f64 v[74:75], v[74:75], v[36:37], v[87:88]
	v_fma_f64 v[48:49], v[48:49], v[36:37], -v[89:90]
	v_fma_f64 v[50:51], v[50:51], v[36:37], v[91:92]
	;; [unrolled: 2-line block ×5, first 2 shown]
	v_lshlrev_b32_e32 v100, 1, v243
	v_add_nc_u32_e32 v101, 0x420, v31
	s_delay_alu instid0(VALU_DEP_1) | instskip(NEXT) | instid1(VALU_DEP_1)
	v_and_or_b32 v84, 0x7f8, v101, v18
	v_lshlrev_b32_e32 v23, 4, v84
	v_add_f64 v[40:41], v[52:53], -v[72:73]
	v_add_f64 v[42:43], v[54:55], -v[74:75]
	;; [unrolled: 1-line block ×10, first 2 shown]
	v_and_or_b32 v85, 0x1f8, v31, v18
	v_and_or_b32 v86, 0x3f8, v30, v18
	v_and_or_b32 v87, 0x7f8, v100, v18
	s_delay_alu instid0(VALU_DEP_3) | instskip(NEXT) | instid1(VALU_DEP_3)
	v_lshlrev_b32_e32 v27, 4, v85
	v_lshlrev_b32_e32 v22, 4, v86
	s_delay_alu instid0(VALU_DEP_3)
	v_lshlrev_b32_e32 v21, 4, v87
	v_fma_f64 v[52:53], v[52:53], 2.0, -v[40:41]
	v_fma_f64 v[54:55], v[54:55], 2.0, -v[42:43]
	;; [unrolled: 1-line block ×10, first 2 shown]
	ds_store_b128 v27, v[52:55]
	ds_store_b128 v27, v[40:43] offset:64
	ds_store_b128 v22, v[56:59]
	ds_store_b128 v22, v[72:75] offset:64
	;; [unrolled: 2-line block ×4, first 2 shown]
	s_and_saveexec_b32 s1, s0
	s_cbranch_execz .LBB0_11
; %bb.10:
	v_and_or_b32 v40, 0x7f8, v16, v18
	s_delay_alu instid0(VALU_DEP_1)
	v_lshlrev_b32_e32 v40, 4, v40
	ds_store_b128 v40, v[32:35]
	ds_store_b128 v40, v[48:51] offset:64
.LBB0_11:
	s_or_b32 exec_lo, exec_lo, s1
	s_waitcnt lgkmcnt(0)
	s_barrier
	buffer_gl0_inv
	ds_load_b128 v[52:55], v223
	ds_load_b128 v[56:59], v223 offset:2816
	ds_load_b128 v[68:71], v223 offset:12672
	;; [unrolled: 1-line block ×7, first 2 shown]
	s_and_saveexec_b32 s1, s0
	s_cbranch_execz .LBB0_13
; %bb.12:
	ds_load_b128 v[32:35], v223 offset:11264
	ds_load_b128 v[48:51], v223 offset:23936
.LBB0_13:
	s_or_b32 exec_lo, exec_lo, s1
	v_and_b32_e32 v20, 7, v232
	s_delay_alu instid0(VALU_DEP_1)
	v_lshlrev_b32_e32 v40, 4, v20
	global_load_b128 v[40:43], v40, s[2:3] offset:64
	s_waitcnt vmcnt(0) lgkmcnt(0)
	s_barrier
	buffer_gl0_inv
	v_mul_f64 v[84:85], v[70:71], v[42:43]
	v_mul_f64 v[86:87], v[68:69], v[42:43]
	;; [unrolled: 1-line block ×10, first 2 shown]
	v_fma_f64 v[68:69], v[68:69], v[40:41], -v[84:85]
	v_fma_f64 v[70:71], v[70:71], v[40:41], v[86:87]
	v_fma_f64 v[64:65], v[64:65], v[40:41], -v[88:89]
	v_fma_f64 v[66:67], v[66:67], v[40:41], v[90:91]
	;; [unrolled: 2-line block ×5, first 2 shown]
	v_add_f64 v[48:49], v[52:53], -v[68:69]
	v_add_f64 v[50:51], v[54:55], -v[70:71]
	;; [unrolled: 1-line block ×10, first 2 shown]
	v_fma_f64 v[84:85], v[52:53], 2.0, -v[48:49]
	v_fma_f64 v[86:87], v[54:55], 2.0, -v[50:51]
	;; [unrolled: 1-line block ×10, first 2 shown]
	v_and_or_b32 v32, 0x1f0, v31, v20
	v_and_or_b32 v33, 0x3f0, v30, v20
	;; [unrolled: 1-line block ×4, first 2 shown]
	s_delay_alu instid0(VALU_DEP_4) | instskip(NEXT) | instid1(VALU_DEP_4)
	v_lshlrev_b32_e32 v29, 4, v32
	v_lshlrev_b32_e32 v25, 4, v33
	s_delay_alu instid0(VALU_DEP_4) | instskip(NEXT) | instid1(VALU_DEP_4)
	v_lshlrev_b32_e32 v28, 4, v34
	v_lshlrev_b32_e32 v26, 4, v35
	ds_store_b128 v29, v[84:87]
	ds_store_b128 v29, v[48:51] offset:128
	ds_store_b128 v25, v[68:71]
	ds_store_b128 v25, v[64:67] offset:128
	;; [unrolled: 2-line block ×4, first 2 shown]
	s_and_saveexec_b32 s1, s0
	s_cbranch_execz .LBB0_15
; %bb.14:
	v_and_or_b32 v32, 0x7f0, v16, v20
	s_delay_alu instid0(VALU_DEP_1)
	v_lshlrev_b32_e32 v32, 4, v32
	ds_store_b128 v32, v[96:99]
	ds_store_b128 v32, v[72:75] offset:128
.LBB0_15:
	s_or_b32 exec_lo, exec_lo, s1
	v_cmp_gt_u16_e64 s1, 0x90, v232
	s_waitcnt lgkmcnt(0)
	s_barrier
	buffer_gl0_inv
	s_and_saveexec_b32 s10, s1
	s_cbranch_execz .LBB0_17
; %bb.16:
	ds_load_b128 v[84:87], v223
	ds_load_b128 v[48:51], v223 offset:2304
	ds_load_b128 v[68:71], v223 offset:4608
	;; [unrolled: 1-line block ×10, first 2 shown]
.LBB0_17:
	s_or_b32 exec_lo, exec_lo, s10
	v_and_b32_e32 v0, 15, v232
	s_mov_b32 s16, 0xf8bb580b
	s_mov_b32 s17, 0xbfe14ced
	;; [unrolled: 1-line block ×4, first 2 shown]
	v_mad_u64_u32 v[124:125], null, 0xa0, v0, s[2:3]
	s_mov_b32 s14, 0x8eee2c13
	s_mov_b32 s15, 0xbfed1bb4
	;; [unrolled: 1-line block ×6, first 2 shown]
	s_clause 0x1
	global_load_b128 v[32:35], v[124:125], off offset:192
	global_load_b128 v[52:55], v[124:125], off offset:208
	s_mov_b32 s18, 0x640f44db
	s_mov_b32 s19, 0xbfc2375f
	;; [unrolled: 1-line block ×16, first 2 shown]
	v_lshrrev_b32_e32 v224, 4, v232
	s_waitcnt vmcnt(1) lgkmcnt(9)
	v_mul_f64 v[56:57], v[48:49], v[34:35]
	s_delay_alu instid0(VALU_DEP_1) | instskip(SKIP_1) | instid1(VALU_DEP_1)
	v_fma_f64 v[148:149], v[50:51], v[32:33], v[56:57]
	v_mul_f64 v[50:51], v[50:51], v[34:35]
	v_fma_f64 v[150:151], v[48:49], v[32:33], -v[50:51]
	s_clause 0x1
	global_load_b128 v[48:51], v[124:125], off offset:336
	global_load_b128 v[56:59], v[124:125], off offset:320
	s_waitcnt vmcnt(1) lgkmcnt(0)
	v_mul_f64 v[100:101], v[60:61], v[50:51]
	s_delay_alu instid0(VALU_DEP_1) | instskip(SKIP_1) | instid1(VALU_DEP_2)
	v_fma_f64 v[100:101], v[62:63], v[48:49], v[100:101]
	v_mul_f64 v[62:63], v[62:63], v[50:51]
	v_add_f64 v[211:212], v[148:149], -v[100:101]
	s_delay_alu instid0(VALU_DEP_2) | instskip(SKIP_2) | instid1(VALU_DEP_4)
	v_fma_f64 v[102:103], v[60:61], v[48:49], -v[62:63]
	v_mul_f64 v[60:61], v[70:71], v[54:55]
	v_add_f64 v[215:216], v[148:149], v[100:101]
	v_mul_f64 v[207:208], v[211:212], s[16:17]
	s_delay_alu instid0(VALU_DEP_4) | instskip(NEXT) | instid1(VALU_DEP_4)
	v_add_f64 v[209:210], v[150:151], v[102:103]
	v_fma_f64 v[108:109], v[68:69], v[52:53], -v[60:61]
	v_mul_f64 v[60:61], v[68:69], v[54:55]
	v_add_f64 v[217:218], v[150:151], -v[102:103]
	v_mul_f64 v[219:220], v[211:212], s[14:15]
	s_delay_alu instid0(VALU_DEP_3) | instskip(SKIP_2) | instid1(VALU_DEP_4)
	v_fma_f64 v[110:111], v[70:71], v[52:53], v[60:61]
	s_waitcnt vmcnt(0)
	v_mul_f64 v[60:61], v[72:73], v[58:59]
	v_mul_f64 v[213:214], v[217:218], s[16:17]
	;; [unrolled: 1-line block ×3, first 2 shown]
	s_delay_alu instid0(VALU_DEP_3) | instskip(SKIP_1) | instid1(VALU_DEP_2)
	v_fma_f64 v[104:105], v[74:75], v[56:57], v[60:61]
	v_mul_f64 v[60:61], v[74:75], v[58:59]
	v_add_f64 v[144:145], v[110:111], -v[104:105]
	s_delay_alu instid0(VALU_DEP_2)
	v_fma_f64 v[106:107], v[72:73], v[56:57], -v[60:61]
	s_clause 0x1
	global_load_b128 v[60:63], v[124:125], off offset:224
	global_load_b128 v[68:71], v[124:125], off offset:240
	v_add_f64 v[136:137], v[110:111], v[104:105]
	v_mul_f64 v[134:135], v[144:145], s[14:15]
	v_add_f64 v[146:147], v[108:109], -v[106:107]
	v_mul_f64 v[191:192], v[144:145], s[30:31]
	s_delay_alu instid0(VALU_DEP_2) | instskip(SKIP_1) | instid1(VALU_DEP_2)
	v_mul_f64 v[138:139], v[146:147], s[14:15]
	v_mul_f64 v[195:196], v[146:147], s[30:31]
	v_fma_f64 v[128:129], v[136:137], s[10:11], -v[138:139]
	s_delay_alu instid0(VALU_DEP_2) | instskip(SKIP_2) | instid1(VALU_DEP_1)
	v_fma_f64 v[193:194], v[136:137], s[20:21], -v[195:196]
	s_waitcnt vmcnt(1)
	v_mul_f64 v[72:73], v[66:67], v[62:63]
	v_fma_f64 v[112:113], v[64:65], v[60:61], -v[72:73]
	v_mul_f64 v[64:65], v[64:65], v[62:63]
	s_delay_alu instid0(VALU_DEP_1)
	v_fma_f64 v[114:115], v[66:67], v[60:61], v[64:65]
	s_clause 0x1
	global_load_b128 v[64:67], v[124:125], off offset:304
	global_load_b128 v[72:75], v[124:125], off offset:288
	s_waitcnt vmcnt(1)
	v_mul_f64 v[116:117], v[96:97], v[66:67]
	s_delay_alu instid0(VALU_DEP_1) | instskip(SKIP_1) | instid1(VALU_DEP_2)
	v_fma_f64 v[116:117], v[98:99], v[64:65], v[116:117]
	v_mul_f64 v[98:99], v[98:99], v[66:67]
	v_add_f64 v[177:178], v[114:115], -v[116:117]
	s_delay_alu instid0(VALU_DEP_2) | instskip(SKIP_2) | instid1(VALU_DEP_4)
	v_fma_f64 v[96:97], v[96:97], v[64:65], -v[98:99]
	v_mul_f64 v[98:99], v[78:79], v[70:71]
	v_add_f64 v[152:153], v[114:115], v[116:117]
	v_mul_f64 v[142:143], v[177:178], s[22:23]
	s_delay_alu instid0(VALU_DEP_4) | instskip(NEXT) | instid1(VALU_DEP_4)
	v_add_f64 v[140:141], v[112:113], v[96:97]
	v_fma_f64 v[118:119], v[76:77], v[68:69], -v[98:99]
	v_mul_f64 v[76:77], v[76:77], v[70:71]
	v_add_f64 v[175:176], v[112:113], -v[96:97]
	s_delay_alu instid0(VALU_DEP_2) | instskip(SKIP_2) | instid1(VALU_DEP_3)
	v_fma_f64 v[122:123], v[78:79], v[68:69], v[76:77]
	s_waitcnt vmcnt(0)
	v_mul_f64 v[76:77], v[82:83], v[74:75]
	v_mul_f64 v[154:155], v[175:176], s[22:23]
	;; [unrolled: 1-line block ×3, first 2 shown]
	s_delay_alu instid0(VALU_DEP_3) | instskip(SKIP_1) | instid1(VALU_DEP_2)
	v_fma_f64 v[98:99], v[80:81], v[72:73], -v[76:77]
	v_mul_f64 v[76:77], v[80:81], v[74:75]
	v_add_f64 v[156:157], v[118:119], v[98:99]
	s_delay_alu instid0(VALU_DEP_2)
	v_fma_f64 v[120:121], v[82:83], v[72:73], v[76:77]
	s_clause 0x1
	global_load_b128 v[76:79], v[124:125], off offset:256
	global_load_b128 v[80:83], v[124:125], off offset:272
	v_add_f64 v[183:184], v[118:119], -v[98:99]
	s_waitcnt vmcnt(0)
	s_barrier
	buffer_gl0_inv
	v_add_f64 v[185:186], v[122:123], -v[120:121]
	v_add_f64 v[160:161], v[122:123], v[120:121]
	v_mul_f64 v[162:163], v[183:184], s[30:31]
	v_mul_f64 v[203:204], v[183:184], s[36:37]
	s_delay_alu instid0(VALU_DEP_4) | instskip(SKIP_1) | instid1(VALU_DEP_1)
	v_mul_f64 v[158:159], v[185:186], s[30:31]
	v_mul_f64 v[124:125], v[90:91], v[78:79]
	v_fma_f64 v[132:133], v[88:89], v[76:77], -v[124:125]
	v_mul_f64 v[88:89], v[88:89], v[78:79]
	s_delay_alu instid0(VALU_DEP_1) | instskip(SKIP_1) | instid1(VALU_DEP_1)
	v_fma_f64 v[90:91], v[90:91], v[76:77], v[88:89]
	v_mul_f64 v[88:89], v[94:95], v[82:83]
	v_fma_f64 v[88:89], v[92:93], v[80:81], -v[88:89]
	v_mul_f64 v[92:93], v[92:93], v[82:83]
	s_delay_alu instid0(VALU_DEP_2) | instskip(NEXT) | instid1(VALU_DEP_2)
	v_add_f64 v[164:165], v[132:133], v[88:89]
	v_fma_f64 v[92:93], v[94:95], v[80:81], v[92:93]
	v_fma_f64 v[94:95], v[209:210], s[12:13], v[207:208]
	v_add_f64 v[187:188], v[132:133], -v[88:89]
	s_delay_alu instid0(VALU_DEP_3) | instskip(NEXT) | instid1(VALU_DEP_3)
	v_add_f64 v[189:190], v[90:91], -v[92:93]
	v_add_f64 v[124:125], v[84:85], v[94:95]
	v_add_f64 v[94:95], v[108:109], v[106:107]
	;; [unrolled: 1-line block ×3, first 2 shown]
	v_mul_f64 v[181:182], v[187:188], s[26:27]
	v_mul_f64 v[166:167], v[189:190], s[26:27]
	s_delay_alu instid0(VALU_DEP_4) | instskip(SKIP_1) | instid1(VALU_DEP_2)
	v_fma_f64 v[126:127], v[94:95], s[10:11], v[134:135]
	v_fma_f64 v[130:131], v[94:95], s[20:21], v[191:192]
	v_add_f64 v[124:125], v[126:127], v[124:125]
	v_fma_f64 v[126:127], v[215:216], s[12:13], -v[213:214]
	s_delay_alu instid0(VALU_DEP_1) | instskip(NEXT) | instid1(VALU_DEP_1)
	v_add_f64 v[126:127], v[86:87], v[126:127]
	v_add_f64 v[126:127], v[128:129], v[126:127]
	v_fma_f64 v[128:129], v[140:141], s[18:19], v[142:143]
	s_delay_alu instid0(VALU_DEP_1) | instskip(SKIP_1) | instid1(VALU_DEP_1)
	v_add_f64 v[124:125], v[128:129], v[124:125]
	v_fma_f64 v[128:129], v[152:153], s[18:19], -v[154:155]
	v_add_f64 v[126:127], v[128:129], v[126:127]
	v_fma_f64 v[128:129], v[156:157], s[20:21], v[158:159]
	s_delay_alu instid0(VALU_DEP_1) | instskip(SKIP_1) | instid1(VALU_DEP_1)
	v_add_f64 v[124:125], v[128:129], v[124:125]
	v_fma_f64 v[128:129], v[160:161], s[20:21], -v[162:163]
	;; [unrolled: 5-line block ×3, first 2 shown]
	v_add_f64 v[126:127], v[128:129], v[126:127]
	v_fma_f64 v[128:129], v[209:210], s[10:11], v[219:220]
	s_delay_alu instid0(VALU_DEP_1) | instskip(NEXT) | instid1(VALU_DEP_1)
	v_add_f64 v[128:129], v[84:85], v[128:129]
	v_add_f64 v[128:129], v[130:131], v[128:129]
	v_fma_f64 v[130:131], v[215:216], s[10:11], -v[221:222]
	s_delay_alu instid0(VALU_DEP_1) | instskip(NEXT) | instid1(VALU_DEP_1)
	v_add_f64 v[130:131], v[86:87], v[130:131]
	v_add_f64 v[130:131], v[193:194], v[130:131]
	v_mul_f64 v[193:194], v[177:178], s[28:29]
	s_delay_alu instid0(VALU_DEP_1) | instskip(NEXT) | instid1(VALU_DEP_1)
	v_fma_f64 v[197:198], v[140:141], s[24:25], v[193:194]
	v_add_f64 v[128:129], v[197:198], v[128:129]
	v_fma_f64 v[197:198], v[152:153], s[24:25], -v[201:202]
	s_delay_alu instid0(VALU_DEP_1) | instskip(SKIP_1) | instid1(VALU_DEP_1)
	v_add_f64 v[130:131], v[197:198], v[130:131]
	v_mul_f64 v[197:198], v[185:186], s[36:37]
	v_fma_f64 v[199:200], v[156:157], s[18:19], v[197:198]
	s_delay_alu instid0(VALU_DEP_1) | instskip(SKIP_1) | instid1(VALU_DEP_1)
	v_add_f64 v[128:129], v[199:200], v[128:129]
	v_fma_f64 v[199:200], v[160:161], s[18:19], -v[203:204]
	v_add_f64 v[130:131], v[199:200], v[130:131]
	v_mul_f64 v[199:200], v[189:190], s[34:35]
	s_delay_alu instid0(VALU_DEP_1) | instskip(NEXT) | instid1(VALU_DEP_1)
	v_fma_f64 v[205:206], v[164:165], s[12:13], v[199:200]
	v_add_f64 v[128:129], v[205:206], v[128:129]
	v_mul_f64 v[205:206], v[187:188], s[34:35]
	s_delay_alu instid0(VALU_DEP_1) | instskip(NEXT) | instid1(VALU_DEP_1)
	v_fma_f64 v[246:247], v[179:180], s[12:13], -v[205:206]
	v_add_f64 v[130:131], v[246:247], v[130:131]
	s_and_saveexec_b32 s33, s1
	s_cbranch_execz .LBB0_19
; %bb.18:
	v_mul_f64 v[246:247], v[215:216], s[10:11]
	v_dual_mov_b32 v8, v248 :: v_dual_mov_b32 v9, v249
	v_dual_mov_b32 v12, v252 :: v_dual_mov_b32 v13, v253
	;; [unrolled: 1-line block ×3, first 2 shown]
	v_mul_f64 v[250:251], v[215:216], s[20:21]
	v_dual_mov_b32 v14, v254 :: v_dual_mov_b32 v15, v255
	v_mul_f64 v[254:255], v[215:216], s[18:19]
	s_mov_b32 s39, 0x3fe82f19
	s_mov_b32 s38, s30
	v_dual_mov_b32 v2, v235 :: v_dual_mov_b32 v3, v236
	v_dual_mov_b32 v4, v237 :: v_dual_mov_b32 v5, v238
	;; [unrolled: 1-line block ×3, first 2 shown]
	v_add_f64 v[241:242], v[84:85], v[150:151]
	s_mov_b32 s41, 0x3fed1bb4
	s_mov_b32 s40, s14
	v_mov_b32_e32 v168, v0
	v_dual_mov_b32 v0, v233 :: v_dual_mov_b32 v1, v234
	v_dual_mov_b32 v233, v229 :: v_dual_mov_b32 v234, v232
	v_mul_f64 v[229:230], v[179:180], s[18:19]
	v_mul_f64 v[231:232], v[189:190], s[22:23]
	v_add_f64 v[221:222], v[221:222], v[246:247]
	v_mul_f64 v[246:247], v[209:210], s[10:11]
	v_fma_f64 v[252:253], v[217:218], s[38:39], v[250:251]
	v_fma_f64 v[250:251], v[217:218], s[30:31], v[250:251]
	;; [unrolled: 1-line block ×3, first 2 shown]
	v_add_f64 v[108:109], v[241:242], v[108:109]
	v_add_f64 v[221:222], v[86:87], v[221:222]
	v_add_f64 v[219:220], v[246:247], -v[219:220]
	v_mul_f64 v[246:247], v[215:216], s[24:25]
	v_mul_f64 v[215:216], v[215:216], s[12:13]
	v_add_f64 v[225:226], v[86:87], v[225:226]
	v_add_f64 v[108:109], v[108:109], v[112:113]
	;; [unrolled: 1-line block ×3, first 2 shown]
	v_fma_f64 v[248:249], v[217:218], s[28:29], v[246:247]
	v_fma_f64 v[246:247], v[217:218], s[26:27], v[246:247]
	;; [unrolled: 1-line block ×3, first 2 shown]
	v_add_f64 v[213:214], v[213:214], v[215:216]
	v_mul_f64 v[215:216], v[211:212], s[26:27]
	v_mul_f64 v[254:255], v[211:212], s[30:31]
	;; [unrolled: 1-line block ×3, first 2 shown]
	v_add_f64 v[108:109], v[108:109], v[118:119]
	v_add_f64 v[217:218], v[86:87], v[217:218]
	;; [unrolled: 1-line block ×3, first 2 shown]
	v_fma_f64 v[235:236], v[209:210], s[24:25], v[215:216]
	v_fma_f64 v[215:216], v[209:210], s[24:25], -v[215:216]
	v_fma_f64 v[237:238], v[209:210], s[20:21], -v[254:255]
	v_fma_f64 v[254:255], v[209:210], s[20:21], v[254:255]
	v_fma_f64 v[239:240], v[209:210], s[18:19], -v[211:212]
	v_fma_f64 v[211:212], v[209:210], s[18:19], v[211:212]
	v_mul_f64 v[209:210], v[209:210], s[12:13]
	v_add_f64 v[150:151], v[84:85], v[235:236]
	v_add_f64 v[235:236], v[86:87], v[246:247]
	;; [unrolled: 1-line block ×3, first 2 shown]
	v_mul_f64 v[252:253], v[136:137], s[12:13]
	v_add_f64 v[215:216], v[84:85], v[215:216]
	v_add_f64 v[239:240], v[84:85], v[239:240]
	v_add_f64 v[207:208], v[209:210], -v[207:208]
	v_add_f64 v[209:210], v[86:87], v[148:149]
	v_add_f64 v[148:149], v[86:87], v[248:249]
	;; [unrolled: 1-line block ×7, first 2 shown]
	v_fma_f64 v[84:85], v[146:147], s[16:17], v[252:253]
	s_delay_alu instid0(VALU_DEP_1) | instskip(SKIP_1) | instid1(VALU_DEP_1)
	v_add_f64 v[84:85], v[84:85], v[148:149]
	v_mul_f64 v[148:149], v[144:145], s[34:35]
	v_fma_f64 v[86:87], v[94:95], s[12:13], v[148:149]
	v_fma_f64 v[148:149], v[94:95], s[12:13], -v[148:149]
	s_delay_alu instid0(VALU_DEP_2) | instskip(SKIP_1) | instid1(VALU_DEP_3)
	v_add_f64 v[86:87], v[86:87], v[150:151]
	v_mul_f64 v[150:151], v[152:153], s[20:21]
	v_add_f64 v[148:149], v[148:149], v[215:216]
	v_mul_f64 v[215:216], v[152:153], s[10:11]
	s_delay_alu instid0(VALU_DEP_3) | instskip(SKIP_1) | instid1(VALU_DEP_2)
	v_fma_f64 v[254:255], v[175:176], s[38:39], v[150:151]
	v_fma_f64 v[150:151], v[175:176], s[30:31], v[150:151]
	v_add_f64 v[84:85], v[254:255], v[84:85]
	v_mul_f64 v[254:255], v[177:178], s[30:31]
	s_delay_alu instid0(VALU_DEP_1) | instskip(NEXT) | instid1(VALU_DEP_1)
	v_fma_f64 v[169:170], v[140:141], s[20:21], v[254:255]
	v_add_f64 v[86:87], v[169:170], v[86:87]
	v_mul_f64 v[169:170], v[160:161], s[10:11]
	s_delay_alu instid0(VALU_DEP_1) | instskip(SKIP_1) | instid1(VALU_DEP_2)
	v_fma_f64 v[171:172], v[183:184], s[14:15], v[169:170]
	v_fma_f64 v[169:170], v[183:184], s[40:41], v[169:170]
	v_add_f64 v[84:85], v[171:172], v[84:85]
	v_mul_f64 v[171:172], v[185:186], s[40:41]
	s_delay_alu instid0(VALU_DEP_1) | instskip(NEXT) | instid1(VALU_DEP_1)
	v_fma_f64 v[173:174], v[156:157], s[10:11], v[171:172]
	v_add_f64 v[173:174], v[173:174], v[86:87]
	v_fma_f64 v[86:87], v[187:188], s[36:37], v[229:230]
	s_delay_alu instid0(VALU_DEP_1) | instskip(SKIP_1) | instid1(VALU_DEP_1)
	v_add_f64 v[86:87], v[86:87], v[84:85]
	v_fma_f64 v[84:85], v[164:165], s[18:19], v[231:232]
	v_add_f64 v[84:85], v[84:85], v[173:174]
	v_fma_f64 v[173:174], v[146:147], s[34:35], v[252:253]
	s_delay_alu instid0(VALU_DEP_1) | instskip(NEXT) | instid1(VALU_DEP_1)
	v_add_f64 v[173:174], v[173:174], v[235:236]
	v_add_f64 v[150:151], v[150:151], v[173:174]
	v_fma_f64 v[173:174], v[140:141], s[20:21], -v[254:255]
	v_dual_mov_b32 v255, v15 :: v_dual_mov_b32 v254, v14
	v_dual_mov_b32 v253, v13 :: v_dual_mov_b32 v252, v12
	s_delay_alu instid0(VALU_DEP_4) | instskip(NEXT) | instid1(VALU_DEP_4)
	v_add_f64 v[150:151], v[169:170], v[150:151]
	v_add_f64 v[148:149], v[173:174], v[148:149]
	v_fma_f64 v[169:170], v[156:157], s[10:11], -v[171:172]
	v_fma_f64 v[171:172], v[164:165], s[18:19], -v[231:232]
	v_mul_f64 v[173:174], v[152:153], s[24:25]
	s_delay_alu instid0(VALU_DEP_3) | instskip(SKIP_1) | instid1(VALU_DEP_3)
	v_add_f64 v[148:149], v[169:170], v[148:149]
	v_fma_f64 v[169:170], v[187:188], s[22:23], v[229:230]
	v_add_f64 v[173:174], v[201:202], v[173:174]
	v_mul_f64 v[229:230], v[179:180], s[20:21]
	s_delay_alu instid0(VALU_DEP_4) | instskip(NEXT) | instid1(VALU_DEP_4)
	v_add_f64 v[148:149], v[171:172], v[148:149]
	v_add_f64 v[150:151], v[169:170], v[150:151]
	v_mul_f64 v[169:170], v[136:137], s[20:21]
	v_mul_f64 v[171:172], v[94:95], s[20:21]
	s_delay_alu instid0(VALU_DEP_2) | instskip(NEXT) | instid1(VALU_DEP_2)
	v_add_f64 v[169:170], v[195:196], v[169:170]
	v_add_f64 v[171:172], v[171:172], -v[191:192]
	v_mul_f64 v[191:192], v[140:141], s[24:25]
	v_mul_f64 v[195:196], v[156:157], s[18:19]
	s_delay_alu instid0(VALU_DEP_4) | instskip(NEXT) | instid1(VALU_DEP_4)
	v_add_f64 v[169:170], v[169:170], v[221:222]
	v_add_f64 v[171:172], v[171:172], v[219:220]
	s_delay_alu instid0(VALU_DEP_4)
	v_add_f64 v[191:192], v[191:192], -v[193:194]
	v_mul_f64 v[193:194], v[160:161], s[18:19]
	v_add_f64 v[195:196], v[195:196], -v[197:198]
	v_mul_f64 v[197:198], v[179:180], s[12:13]
	v_mul_f64 v[219:220], v[177:178], s[40:41]
	;; [unrolled: 1-line block ×4, first 2 shown]
	v_add_f64 v[169:170], v[173:174], v[169:170]
	v_mul_f64 v[173:174], v[164:165], s[12:13]
	v_add_f64 v[171:172], v[191:192], v[171:172]
	v_add_f64 v[193:194], v[203:204], v[193:194]
	v_mul_f64 v[203:204], v[136:137], s[18:19]
	v_add_f64 v[197:198], v[205:206], v[197:198]
	v_mul_f64 v[205:206], v[152:153], s[12:13]
	v_add_f64 v[173:174], v[173:174], -v[199:200]
	v_add_f64 v[171:172], v[195:196], v[171:172]
	v_add_f64 v[169:170], v[193:194], v[169:170]
	s_delay_alu instid0(VALU_DEP_4) | instskip(SKIP_1) | instid1(VALU_DEP_4)
	v_fma_f64 v[231:232], v[175:176], s[16:17], v[205:206]
	v_fma_f64 v[205:206], v[175:176], s[34:35], v[205:206]
	v_add_f64 v[191:192], v[173:174], v[171:172]
	s_delay_alu instid0(VALU_DEP_4)
	v_add_f64 v[193:194], v[197:198], v[169:170]
	v_mul_f64 v[169:170], v[136:137], s[24:25]
	v_mul_f64 v[173:174], v[144:145], s[28:29]
	v_fma_f64 v[197:198], v[175:176], s[40:41], v[215:216]
	v_mul_f64 v[144:145], v[144:145], s[36:37]
	v_mul_f64 v[136:137], v[136:137], s[10:11]
	v_fma_f64 v[171:172], v[146:147], s[28:29], v[169:170]
	v_fma_f64 v[195:196], v[94:95], s[24:25], -v[173:174]
	v_fma_f64 v[173:174], v[94:95], s[24:25], v[173:174]
	v_fma_f64 v[201:202], v[94:95], s[18:19], -v[144:145]
	v_fma_f64 v[144:145], v[94:95], s[18:19], v[144:145]
	v_mul_f64 v[94:95], v[94:95], s[10:11]
	v_add_f64 v[136:137], v[138:139], v[136:137]
	v_mul_f64 v[138:139], v[140:141], s[18:19]
	v_add_f64 v[171:172], v[171:172], v[225:226]
	v_add_f64 v[195:196], v[195:196], v[239:240]
	v_mul_f64 v[225:226], v[185:186], s[16:17]
	v_add_f64 v[201:202], v[201:202], v[237:238]
	v_mul_f64 v[185:186], v[185:186], s[26:27]
	v_mul_f64 v[237:238], v[179:180], s[10:11]
	v_add_f64 v[144:145], v[144:145], v[250:251]
	v_add_f64 v[94:95], v[94:95], -v[134:135]
	v_mul_f64 v[134:135], v[152:153], s[18:19]
	v_add_f64 v[138:139], v[138:139], -v[142:143]
	v_mul_f64 v[142:143], v[156:157], s[20:21]
	v_add_f64 v[136:137], v[136:137], v[213:214]
	v_mul_f64 v[152:153], v[179:180], s[24:25]
	v_add_f64 v[173:174], v[173:174], v[211:212]
	v_dual_mov_b32 v240, v7 :: v_dual_mov_b32 v239, v6
	v_add_f64 v[171:172], v[197:198], v[171:172]
	v_fma_f64 v[197:198], v[140:141], s[10:11], -v[219:220]
	v_add_f64 v[94:95], v[94:95], v[207:208]
	v_add_f64 v[134:135], v[154:155], v[134:135]
	v_add_f64 v[142:143], v[142:143], -v[158:159]
	v_add_f64 v[152:153], v[181:182], v[152:153]
	v_add_f64 v[195:196], v[197:198], v[195:196]
	v_fma_f64 v[197:198], v[183:184], s[16:17], v[221:222]
	v_add_f64 v[94:95], v[138:139], v[94:95]
	v_add_f64 v[134:135], v[134:135], v[136:137]
	v_mul_f64 v[136:137], v[164:165], s[24:25]
	s_delay_alu instid0(VALU_DEP_4) | instskip(SKIP_2) | instid1(VALU_DEP_4)
	v_add_f64 v[171:172], v[197:198], v[171:172]
	v_fma_f64 v[197:198], v[156:157], s[12:13], -v[225:226]
	v_add_f64 v[94:95], v[142:143], v[94:95]
	v_add_f64 v[138:139], v[136:137], -v[166:167]
	s_delay_alu instid0(VALU_DEP_3) | instskip(SKIP_1) | instid1(VALU_DEP_1)
	v_add_f64 v[195:196], v[197:198], v[195:196]
	v_fma_f64 v[197:198], v[187:188], s[30:31], v[229:230]
	v_add_f64 v[197:198], v[197:198], v[171:172]
	v_mul_f64 v[171:172], v[189:190], s[30:31]
	v_mul_f64 v[189:190], v[189:190], s[40:41]
	s_delay_alu instid0(VALU_DEP_2) | instskip(SKIP_1) | instid1(VALU_DEP_2)
	v_fma_f64 v[199:200], v[164:165], s[20:21], -v[171:172]
	v_fma_f64 v[171:172], v[164:165], s[20:21], v[171:172]
	v_add_f64 v[195:196], v[199:200], v[195:196]
	v_fma_f64 v[199:200], v[146:147], s[36:37], v[203:204]
	v_fma_f64 v[203:204], v[146:147], s[22:23], v[203:204]
	s_delay_alu instid0(VALU_DEP_2) | instskip(NEXT) | instid1(VALU_DEP_2)
	v_add_f64 v[199:200], v[199:200], v[248:249]
	v_add_f64 v[203:204], v[203:204], v[246:247]
	v_dual_mov_b32 v251, v11 :: v_dual_mov_b32 v250, v10
	v_dual_mov_b32 v249, v9 :: v_dual_mov_b32 v248, v8
	s_delay_alu instid0(VALU_DEP_4) | instskip(SKIP_3) | instid1(VALU_DEP_3)
	v_add_f64 v[199:200], v[231:232], v[199:200]
	v_fma_f64 v[231:232], v[140:141], s[12:13], -v[177:178]
	v_fma_f64 v[177:178], v[140:141], s[12:13], v[177:178]
	v_add_f64 v[203:204], v[205:206], v[203:204]
	v_add_f64 v[201:202], v[231:232], v[201:202]
	v_mul_f64 v[231:232], v[160:161], s[24:25]
	s_delay_alu instid0(VALU_DEP_4) | instskip(NEXT) | instid1(VALU_DEP_2)
	v_add_f64 v[144:145], v[177:178], v[144:145]
	v_fma_f64 v[235:236], v[183:184], s[26:27], v[231:232]
	v_fma_f64 v[177:178], v[183:184], s[28:29], v[231:232]
	v_mov_b32_e32 v232, v234
	s_delay_alu instid0(VALU_DEP_3) | instskip(SKIP_3) | instid1(VALU_DEP_3)
	v_add_f64 v[199:200], v[235:236], v[199:200]
	v_fma_f64 v[235:236], v[156:157], s[24:25], -v[185:186]
	v_fma_f64 v[185:186], v[156:157], s[24:25], v[185:186]
	v_add_f64 v[177:178], v[177:178], v[203:204]
	v_add_f64 v[235:236], v[235:236], v[201:202]
	v_fma_f64 v[201:202], v[187:188], s[40:41], v[237:238]
	s_delay_alu instid0(VALU_DEP_4) | instskip(SKIP_1) | instid1(VALU_DEP_3)
	v_add_f64 v[144:145], v[185:186], v[144:145]
	v_fma_f64 v[185:186], v[187:188], s[14:15], v[237:238]
	v_add_f64 v[201:202], v[201:202], v[199:200]
	v_fma_f64 v[199:200], v[164:165], s[10:11], -v[189:190]
	v_fma_f64 v[189:190], v[164:165], s[10:11], v[189:190]
	s_delay_alu instid0(VALU_DEP_4) | instskip(NEXT) | instid1(VALU_DEP_3)
	v_add_f64 v[205:206], v[185:186], v[177:178]
	v_add_f64 v[199:200], v[199:200], v[235:236]
	s_delay_alu instid0(VALU_DEP_3)
	v_add_f64 v[203:204], v[189:190], v[144:145]
	v_fma_f64 v[144:145], v[146:147], s[26:27], v[169:170]
	v_fma_f64 v[146:147], v[175:176], s[14:15], v[215:216]
	v_fma_f64 v[169:170], v[183:184], s[34:35], v[221:222]
	v_fma_f64 v[175:176], v[187:188], s[38:39], v[229:230]
	v_mov_b32_e32 v238, v5
	v_dual_mov_b32 v236, v3 :: v_dual_mov_b32 v229, v233
	v_dual_mov_b32 v234, v1 :: v_dual_mov_b32 v233, v0
	v_mov_b32_e32 v0, v168
	v_mov_b32_e32 v237, v4
	;; [unrolled: 1-line block ×3, first 2 shown]
	v_add_f64 v[144:145], v[144:145], v[217:218]
	s_delay_alu instid0(VALU_DEP_1) | instskip(SKIP_2) | instid1(VALU_DEP_3)
	v_add_f64 v[144:145], v[146:147], v[144:145]
	v_fma_f64 v[146:147], v[140:141], s[10:11], v[219:220]
	v_mul_f64 v[140:141], v[160:161], s[20:21]
	v_add_f64 v[144:145], v[169:170], v[144:145]
	s_delay_alu instid0(VALU_DEP_3) | instskip(NEXT) | instid1(VALU_DEP_3)
	v_add_f64 v[146:147], v[146:147], v[173:174]
	v_add_f64 v[140:141], v[162:163], v[140:141]
	v_fma_f64 v[169:170], v[156:157], s[12:13], v[225:226]
	s_delay_alu instid0(VALU_DEP_2) | instskip(NEXT) | instid1(VALU_DEP_2)
	v_add_f64 v[134:135], v[140:141], v[134:135]
	v_add_f64 v[169:170], v[169:170], v[146:147]
	;; [unrolled: 1-line block ×3, first 2 shown]
	s_delay_alu instid0(VALU_DEP_3) | instskip(SKIP_3) | instid1(VALU_DEP_2)
	v_add_f64 v[136:137], v[152:153], v[134:135]
	v_add_f64 v[134:135], v[138:139], v[94:95]
	;; [unrolled: 1-line block ×5, first 2 shown]
	s_delay_alu instid0(VALU_DEP_1) | instskip(NEXT) | instid1(VALU_DEP_1)
	v_add_f64 v[94:95], v[94:95], v[122:123]
	v_add_f64 v[90:91], v[94:95], v[90:91]
	;; [unrolled: 1-line block ×3, first 2 shown]
	s_delay_alu instid0(VALU_DEP_2) | instskip(NEXT) | instid1(VALU_DEP_2)
	v_add_f64 v[90:91], v[90:91], v[92:93]
	v_add_f64 v[88:89], v[94:95], v[88:89]
	v_mul_u32_u24_e32 v92, 0xb0, v224
	s_delay_alu instid0(VALU_DEP_1) | instskip(NEXT) | instid1(VALU_DEP_1)
	v_or_b32_e32 v92, v92, v0
	v_lshlrev_b32_e32 v92, 4, v92
	v_add_f64 v[90:91], v[90:91], v[120:121]
	v_add_f64 v[88:89], v[88:89], v[98:99]
	s_delay_alu instid0(VALU_DEP_2) | instskip(NEXT) | instid1(VALU_DEP_2)
	v_add_f64 v[90:91], v[90:91], v[116:117]
	v_add_f64 v[88:89], v[88:89], v[96:97]
	s_delay_alu instid0(VALU_DEP_2) | instskip(NEXT) | instid1(VALU_DEP_2)
	v_add_f64 v[90:91], v[90:91], v[104:105]
	v_add_f64 v[88:89], v[88:89], v[106:107]
	s_delay_alu instid0(VALU_DEP_2) | instskip(NEXT) | instid1(VALU_DEP_2)
	v_add_f64 v[90:91], v[90:91], v[100:101]
	v_add_f64 v[88:89], v[88:89], v[102:103]
	ds_store_b128 v92, v[191:194] offset:512
	ds_store_b128 v92, v[195:198] offset:768
	;; [unrolled: 1-line block ×9, first 2 shown]
	ds_store_b128 v92, v[88:91]
	ds_store_b128 v92, v[124:127] offset:2560
.LBB0_19:
	s_or_b32 exec_lo, exec_lo, s33
	v_and_b32_e32 v84, 0xffff, v243
	v_lshlrev_b32_e32 v178, 4, v31
	s_waitcnt lgkmcnt(0)
	s_barrier
	buffer_gl0_inv
	v_mul_u32_u24_e32 v84, 0xba2f, v84
	s_mov_b32 s13, 0xbfebb67a
	v_lshlrev_b32_e32 v179, 5, v243
	s_delay_alu instid0(VALU_DEP_2) | instskip(NEXT) | instid1(VALU_DEP_1)
	v_lshrrev_b32_e32 v84, 23, v84
	v_mul_lo_u16 v84, 0xb0, v84
	s_delay_alu instid0(VALU_DEP_1) | instskip(NEXT) | instid1(VALU_DEP_1)
	v_sub_nc_u16 v177, v243, v84
	v_lshlrev_b16 v84, 5, v177
	s_delay_alu instid0(VALU_DEP_1) | instskip(SKIP_4) | instid1(VALU_DEP_1)
	v_and_b32_e32 v92, 0xffff, v84
	s_clause 0x1
	global_load_b128 v[84:87], v178, s[2:3] offset:2768
	global_load_b128 v[88:91], v178, s[2:3] offset:2752
	v_add_co_u32 v178, s14, s2, v178
	v_add_co_ci_u32_e64 v180, null, s3, 0, s14
	v_add_co_u32 v92, s10, s2, v92
	s_delay_alu instid0(VALU_DEP_1)
	v_add_co_ci_u32_e64 v93, null, s3, 0, s10
	s_mov_b32 s10, 0xe8584caa
	s_mov_b32 s11, 0x3febb67a
	s_clause 0x1
	global_load_b128 v[96:99], v[92:93], off offset:2752
	global_load_b128 v[92:95], v[92:93], off offset:2768
	ds_load_b128 v[100:103], v223 offset:8448
	ds_load_b128 v[104:107], v223 offset:16896
	;; [unrolled: 1-line block ×7, first 2 shown]
	s_mov_b32 s12, s10
	s_waitcnt vmcnt(3) lgkmcnt(5)
	v_mul_f64 v[138:139], v[106:107], v[86:87]
	s_waitcnt vmcnt(2)
	v_mul_f64 v[136:137], v[102:103], v[90:91]
	v_mul_f64 v[140:141], v[100:101], v[90:91]
	;; [unrolled: 1-line block ×3, first 2 shown]
	s_waitcnt lgkmcnt(4)
	v_mul_f64 v[144:145], v[110:111], v[90:91]
	s_waitcnt lgkmcnt(3)
	v_mul_f64 v[146:147], v[114:115], v[86:87]
	v_mul_f64 v[148:149], v[108:109], v[90:91]
	;; [unrolled: 1-line block ×3, first 2 shown]
	s_waitcnt vmcnt(1) lgkmcnt(2)
	v_mul_f64 v[152:153], v[118:119], v[98:99]
	s_waitcnt vmcnt(0) lgkmcnt(1)
	v_mul_f64 v[154:155], v[122:123], v[94:95]
	v_mul_f64 v[156:157], v[116:117], v[98:99]
	;; [unrolled: 1-line block ×3, first 2 shown]
	v_fma_f64 v[138:139], v[104:105], v[84:85], -v[138:139]
	v_fma_f64 v[136:137], v[100:101], v[88:89], -v[136:137]
	v_fma_f64 v[140:141], v[102:103], v[88:89], v[140:141]
	v_fma_f64 v[142:143], v[106:107], v[84:85], v[142:143]
	v_fma_f64 v[108:109], v[108:109], v[88:89], -v[144:145]
	v_fma_f64 v[112:113], v[112:113], v[84:85], -v[146:147]
	v_fma_f64 v[110:111], v[110:111], v[88:89], v[148:149]
	v_fma_f64 v[114:115], v[114:115], v[84:85], v[150:151]
	ds_load_b128 v[100:103], v223
	ds_load_b128 v[104:107], v223 offset:2816
	s_waitcnt lgkmcnt(0)
	s_barrier
	buffer_gl0_inv
	v_fma_f64 v[116:117], v[116:117], v[96:97], -v[152:153]
	v_fma_f64 v[120:121], v[120:121], v[92:93], -v[154:155]
	v_fma_f64 v[118:119], v[118:119], v[96:97], v[156:157]
	v_fma_f64 v[122:123], v[122:123], v[92:93], v[158:159]
	v_add_f64 v[144:145], v[136:137], v[138:139]
	v_add_f64 v[156:157], v[100:101], v[136:137]
	;; [unrolled: 1-line block ×3, first 2 shown]
	v_add_f64 v[158:159], v[140:141], -v[142:143]
	v_add_f64 v[148:149], v[108:109], v[112:113]
	v_add_f64 v[140:141], v[102:103], v[140:141]
	;; [unrolled: 1-line block ×5, first 2 shown]
	v_add_f64 v[136:137], v[136:137], -v[138:139]
	v_add_f64 v[169:170], v[110:111], -v[114:115]
	v_add_f64 v[164:165], v[132:133], v[116:117]
	v_add_f64 v[152:153], v[116:117], v[120:121]
	;; [unrolled: 1-line block ×4, first 2 shown]
	v_add_f64 v[171:172], v[108:109], -v[112:113]
	v_add_f64 v[173:174], v[118:119], -v[122:123]
	;; [unrolled: 1-line block ×3, first 2 shown]
	v_fma_f64 v[144:145], v[144:145], -0.5, v[100:101]
	v_lshlrev_b32_e32 v100, 4, v30
	v_fma_f64 v[146:147], v[146:147], -0.5, v[102:103]
	v_fma_f64 v[148:149], v[148:149], -0.5, v[104:105]
	v_add_f64 v[102:103], v[140:141], v[142:143]
	v_fma_f64 v[150:151], v[150:151], -0.5, v[106:107]
	v_add_co_u32 v181, s14, s2, v100
	v_add_f64 v[100:101], v[156:157], v[138:139]
	v_add_f64 v[104:105], v[160:161], v[112:113]
	;; [unrolled: 1-line block ×3, first 2 shown]
	v_fma_f64 v[152:153], v[152:153], -0.5, v[132:133]
	v_add_f64 v[108:109], v[164:165], v[120:121]
	v_fma_f64 v[154:155], v[154:155], -0.5, v[134:135]
	v_add_f64 v[110:111], v[166:167], v[122:123]
	v_add_co_ci_u32_e64 v182, null, s3, 0, s14
	v_and_b32_e32 v156, 0xffff, v177
	s_delay_alu instid0(VALU_DEP_1)
	v_lshlrev_b32_e32 v177, 4, v156
	v_fma_f64 v[112:113], v[158:159], s[10:11], v[144:145]
	v_fma_f64 v[116:117], v[158:159], s[12:13], v[144:145]
	v_fma_f64 v[114:115], v[136:137], s[12:13], v[146:147]
	v_fma_f64 v[118:119], v[136:137], s[10:11], v[146:147]
	v_fma_f64 v[120:121], v[169:170], s[10:11], v[148:149]
	v_fma_f64 v[132:133], v[169:170], s[12:13], v[148:149]
	v_fma_f64 v[122:123], v[171:172], s[12:13], v[150:151]
	v_fma_f64 v[134:135], v[171:172], s[10:11], v[150:151]
	v_fma_f64 v[136:137], v[173:174], s[10:11], v[152:153]
	v_fma_f64 v[140:141], v[173:174], s[12:13], v[152:153]
	v_fma_f64 v[138:139], v[175:176], s[12:13], v[154:155]
	v_fma_f64 v[142:143], v[175:176], s[10:11], v[154:155]
	v_add_co_u32 v154, s2, s2, v179
	s_delay_alu instid0(VALU_DEP_1) | instskip(SKIP_1) | instid1(VALU_DEP_1)
	v_add_co_ci_u32_e64 v155, null, s3, 0, s2
	v_add_co_u32 v144, s2, 0x20c0, v178
	v_add_co_ci_u32_e64 v145, s2, 0, v180, s2
	v_add_co_u32 v146, s2, 0x2000, v178
	s_delay_alu instid0(VALU_DEP_1) | instskip(SKIP_1) | instid1(VALU_DEP_1)
	v_add_co_ci_u32_e64 v147, s2, 0, v180, s2
	v_add_co_u32 v148, s2, 0x20c0, v181
	v_add_co_ci_u32_e64 v149, s2, 0, v182, s2
	v_add_co_u32 v150, s2, 0x2000, v181
	s_delay_alu instid0(VALU_DEP_1) | instskip(SKIP_1) | instid1(VALU_DEP_1)
	v_add_co_ci_u32_e64 v151, s2, 0, v182, s2
	v_add_co_u32 v152, s2, 0x20c0, v154
	v_add_co_ci_u32_e64 v153, s2, 0, v155, s2
	ds_store_b128 v223, v[100:103]
	ds_store_b128 v223, v[112:115] offset:2816
	ds_store_b128 v223, v[116:119] offset:5632
	;; [unrolled: 1-line block ×8, first 2 shown]
	v_add_co_u32 v116, s2, 0x2000, v154
	s_waitcnt lgkmcnt(0)
	s_barrier
	buffer_gl0_inv
	s_clause 0x1
	global_load_b128 v[100:103], v[146:147], off offset:192
	global_load_b128 v[104:107], v[144:145], off offset:16
	v_add_co_ci_u32_e64 v117, s2, 0, v155, s2
	s_clause 0x3
	global_load_b128 v[108:111], v[150:151], off offset:192
	global_load_b128 v[112:115], v[148:149], off offset:16
	;; [unrolled: 1-line block ×4, first 2 shown]
	ds_load_b128 v[132:135], v223 offset:8448
	ds_load_b128 v[136:139], v223 offset:16896
	;; [unrolled: 1-line block ×7, first 2 shown]
	s_waitcnt vmcnt(5) lgkmcnt(6)
	v_mul_f64 v[160:161], v[134:135], v[102:103]
	s_waitcnt vmcnt(4) lgkmcnt(5)
	v_mul_f64 v[162:163], v[138:139], v[106:107]
	v_mul_f64 v[164:165], v[132:133], v[102:103]
	v_mul_f64 v[166:167], v[136:137], v[106:107]
	s_waitcnt vmcnt(3) lgkmcnt(4)
	v_mul_f64 v[169:170], v[142:143], v[110:111]
	s_waitcnt vmcnt(2) lgkmcnt(3)
	v_mul_f64 v[171:172], v[146:147], v[114:115]
	v_mul_f64 v[173:174], v[140:141], v[110:111]
	v_mul_f64 v[175:176], v[144:145], v[114:115]
	;; [unrolled: 6-line block ×3, first 2 shown]
	v_fma_f64 v[160:161], v[132:133], v[100:101], -v[160:161]
	v_fma_f64 v[162:163], v[136:137], v[104:105], -v[162:163]
	v_fma_f64 v[164:165], v[134:135], v[100:101], v[164:165]
	v_fma_f64 v[166:167], v[138:139], v[104:105], v[166:167]
	v_fma_f64 v[140:141], v[140:141], v[108:109], -v[169:170]
	v_fma_f64 v[144:145], v[144:145], v[112:113], -v[171:172]
	v_fma_f64 v[142:143], v[142:143], v[108:109], v[173:174]
	v_fma_f64 v[146:147], v[146:147], v[112:113], v[175:176]
	;; [unrolled: 4-line block ×3, first 2 shown]
	ds_load_b128 v[132:135], v223
	ds_load_b128 v[136:139], v223 offset:2816
	s_waitcnt lgkmcnt(1)
	v_add_f64 v[182:183], v[132:133], v[160:161]
	v_add_f64 v[169:170], v[160:161], v[162:163]
	v_add_f64 v[160:161], v[160:161], -v[162:163]
	v_add_f64 v[171:172], v[164:165], v[166:167]
	v_add_f64 v[184:185], v[164:165], -v[166:167]
	v_add_f64 v[173:174], v[140:141], v[144:145]
	v_add_f64 v[164:165], v[134:135], v[164:165]
	;; [unrolled: 1-line block ×3, first 2 shown]
	s_waitcnt lgkmcnt(0)
	v_add_f64 v[186:187], v[136:137], v[140:141]
	v_add_f64 v[178:179], v[148:149], v[152:153]
	;; [unrolled: 1-line block ×6, first 2 shown]
	v_add_f64 v[196:197], v[148:149], -v[152:153]
	v_fma_f64 v[132:133], v[169:170], -0.5, v[132:133]
	v_add_f64 v[169:170], v[142:143], -v[146:147]
	v_fma_f64 v[134:135], v[171:172], -0.5, v[134:135]
	;; [unrolled: 2-line block ×3, first 2 shown]
	v_add_f64 v[140:141], v[164:165], v[166:167]
	v_fma_f64 v[173:174], v[175:176], -0.5, v[138:139]
	v_add_f64 v[175:176], v[150:151], -v[154:155]
	v_fma_f64 v[194:195], v[178:179], -0.5, v[156:157]
	v_add_f64 v[138:139], v[182:183], v[162:163]
	v_fma_f64 v[198:199], v[180:181], -0.5, v[158:159]
	v_add_f64 v[142:143], v[186:187], v[144:145]
	v_add_f64 v[144:145], v[188:189], v[146:147]
	v_add_f64 v[148:149], v[192:193], v[154:155]
	v_add_f64 v[146:147], v[190:191], v[152:153]
	v_fma_f64 v[154:155], v[184:185], s[12:13], v[132:133]
	v_fma_f64 v[150:151], v[184:185], s[10:11], v[132:133]
	;; [unrolled: 1-line block ×12, first 2 shown]
	v_add_co_u32 v136, s2, 0x6300, v227
	s_delay_alu instid0(VALU_DEP_1) | instskip(SKIP_1) | instid1(VALU_DEP_1)
	v_add_co_ci_u32_e64 v137, s2, 0, v228, s2
	v_add_co_u32 v175, s2, 0x6000, v227
	v_add_co_ci_u32_e64 v176, s2, 0, v228, s2
	v_add_co_u32 v166, s2, 0x7000, v227
	s_delay_alu instid0(VALU_DEP_1) | instskip(SKIP_1) | instid1(VALU_DEP_1)
	v_add_co_ci_u32_e64 v167, s2, 0, v228, s2
	v_add_co_u32 v169, s2, 0x9000, v227
	v_add_co_ci_u32_e64 v170, s2, 0, v228, s2
	v_add_co_u32 v171, s2, 0xa000, v227
	s_delay_alu instid0(VALU_DEP_1)
	v_add_co_ci_u32_e64 v172, s2, 0, v228, s2
	ds_store_b128 v223, v[138:141]
	ds_store_b128 v223, v[142:145] offset:2816
	ds_store_b128 v223, v[154:157] offset:16896
	;; [unrolled: 1-line block ×8, first 2 shown]
	v_add_co_u32 v158, s2, 0x8000, v227
	s_delay_alu instid0(VALU_DEP_1)
	v_add_co_ci_u32_e64 v159, s2, 0, v228, s2
	s_waitcnt lgkmcnt(0)
	s_barrier
	buffer_gl0_inv
	s_clause 0x4
	global_load_b128 v[138:141], v[175:176], off offset:768
	global_load_b128 v[142:145], v[166:167], off offset:3008
	;; [unrolled: 1-line block ×5, first 2 shown]
	v_add_co_u32 v166, s2, 0xb000, v227
	s_delay_alu instid0(VALU_DEP_1)
	v_add_co_ci_u32_e64 v167, s2, 0, v228, s2
	s_clause 0x2
	global_load_b128 v[158:161], v[158:159], off offset:1728
	global_load_b128 v[162:165], v[169:170], off offset:3968
	;; [unrolled: 1-line block ×3, first 2 shown]
	ds_load_b128 v[182:185], v223
	ds_load_b128 v[186:189], v223 offset:6336
	ds_load_b128 v[190:193], v223 offset:12672
	;; [unrolled: 1-line block ×7, first 2 shown]
	s_waitcnt vmcnt(6) lgkmcnt(6)
	v_mul_f64 v[169:170], v[188:189], v[144:145]
	v_mul_f64 v[144:145], v[186:187], v[144:145]
	v_mul_f64 v[166:167], v[184:185], v[140:141]
	v_mul_f64 v[140:141], v[182:183], v[140:141]
	s_waitcnt vmcnt(5) lgkmcnt(5)
	v_mul_f64 v[171:172], v[192:193], v[148:149]
	v_mul_f64 v[148:149], v[190:191], v[148:149]
	s_waitcnt vmcnt(4) lgkmcnt(4)
	v_mul_f64 v[173:174], v[196:197], v[152:153]
	v_mul_f64 v[152:153], v[194:195], v[152:153]
	;; [unrolled: 3-line block ×6, first 2 shown]
	v_fma_f64 v[164:165], v[182:183], v[138:139], -v[166:167]
	v_fma_f64 v[166:167], v[184:185], v[138:139], v[140:141]
	v_fma_f64 v[138:139], v[186:187], v[142:143], -v[169:170]
	v_fma_f64 v[140:141], v[188:189], v[142:143], v[144:145]
	;; [unrolled: 2-line block ×8, first 2 shown]
	ds_store_b128 v223, v[164:167]
	ds_store_b128 v223, v[150:153] offset:2816
	ds_store_b128 v223, v[138:141] offset:6336
	;; [unrolled: 1-line block ×7, first 2 shown]
	s_and_saveexec_b32 s3, vcc_lo
	s_cbranch_execz .LBB0_21
; %bb.20:
	v_add_co_u32 v138, s2, 0x1000, v136
	s_delay_alu instid0(VALU_DEP_1) | instskip(SKIP_1) | instid1(VALU_DEP_1)
	v_add_co_ci_u32_e64 v139, s2, 0, v137, s2
	v_add_co_u32 v142, s2, 0x2000, v136
	v_add_co_ci_u32_e64 v143, s2, 0, v137, s2
	v_add_co_u32 v146, s2, 0x4000, v136
	s_delay_alu instid0(VALU_DEP_1)
	v_add_co_ci_u32_e64 v147, s2, 0, v137, s2
	v_add_co_u32 v136, s2, 0x6000, v136
	global_load_b128 v[138:141], v[138:139], off offset:1536
	v_add_co_ci_u32_e64 v137, s2, 0, v137, s2
	s_clause 0x2
	global_load_b128 v[142:145], v[142:143], off offset:3776
	global_load_b128 v[146:149], v[146:147], off offset:1920
	;; [unrolled: 1-line block ×3, first 2 shown]
	ds_load_b128 v[154:157], v223 offset:5632
	ds_load_b128 v[158:161], v223 offset:11968
	;; [unrolled: 1-line block ×4, first 2 shown]
	s_waitcnt vmcnt(3) lgkmcnt(3)
	v_mul_f64 v[136:137], v[156:157], v[140:141]
	v_mul_f64 v[140:141], v[154:155], v[140:141]
	s_waitcnt vmcnt(2) lgkmcnt(2)
	v_mul_f64 v[166:167], v[160:161], v[144:145]
	v_mul_f64 v[144:145], v[158:159], v[144:145]
	;; [unrolled: 3-line block ×4, first 2 shown]
	v_fma_f64 v[136:137], v[154:155], v[138:139], -v[136:137]
	v_fma_f64 v[138:139], v[156:157], v[138:139], v[140:141]
	v_fma_f64 v[140:141], v[158:159], v[142:143], -v[166:167]
	v_fma_f64 v[142:143], v[160:161], v[142:143], v[144:145]
	;; [unrolled: 2-line block ×4, first 2 shown]
	ds_store_b128 v223, v[136:139] offset:5632
	ds_store_b128 v223, v[140:143] offset:11968
	;; [unrolled: 1-line block ×4, first 2 shown]
.LBB0_21:
	s_or_b32 exec_lo, exec_lo, s3
	s_waitcnt lgkmcnt(0)
	s_barrier
	buffer_gl0_inv
	ds_load_b128 v[136:139], v223
	ds_load_b128 v[140:143], v223 offset:2816
	ds_load_b128 v[148:151], v223 offset:6336
	;; [unrolled: 1-line block ×7, first 2 shown]
	s_and_saveexec_b32 s2, vcc_lo
	s_cbranch_execz .LBB0_23
; %bb.22:
	ds_load_b128 v[132:135], v223 offset:5632
	ds_load_b128 v[128:131], v223 offset:11968
	ds_load_b128 v[124:127], v223 offset:18304
	ds_load_b128 v[44:47], v223 offset:24640
.LBB0_23:
	s_or_b32 exec_lo, exec_lo, s2
	s_waitcnt lgkmcnt(1)
	v_add_f64 v[124:125], v[132:133], -v[124:125]
	v_add_f64 v[126:127], v[134:135], -v[126:127]
	s_waitcnt lgkmcnt(0)
	v_add_f64 v[44:45], v[128:129], -v[44:45]
	v_add_f64 v[46:47], v[130:131], -v[46:47]
	;; [unrolled: 1-line block ×10, first 2 shown]
	s_barrier
	buffer_gl0_inv
	v_fma_f64 v[184:185], v[132:133], 2.0, -v[124:125]
	v_fma_f64 v[186:187], v[134:135], 2.0, -v[126:127]
	;; [unrolled: 1-line block ×12, first 2 shown]
	v_add_f64 v[132:133], v[124:125], v[46:47]
	v_add_f64 v[134:135], v[126:127], -v[44:45]
	v_add_f64 v[136:137], v[164:165], v[162:163]
	v_add_f64 v[138:139], v[166:167], -v[160:161]
	;; [unrolled: 2-line block ×3, first 2 shown]
	v_add_f64 v[44:45], v[184:185], -v[128:129]
	v_add_f64 v[46:47], v[186:187], -v[130:131]
	;; [unrolled: 1-line block ×6, first 2 shown]
	v_fma_f64 v[128:129], v[124:125], 2.0, -v[132:133]
	v_fma_f64 v[130:131], v[126:127], 2.0, -v[134:135]
	;; [unrolled: 1-line block ×12, first 2 shown]
	ds_store_b128 v19, v[144:147] offset:32
	ds_store_b128 v19, v[136:139] offset:48
	ds_store_b128 v19, v[160:163]
	ds_store_b128 v19, v[152:155] offset:16
	ds_store_b128 v24, v[164:167]
	ds_store_b128 v24, v[156:159] offset:16
	ds_store_b128 v24, v[148:151] offset:32
	;; [unrolled: 1-line block ×3, first 2 shown]
	s_and_saveexec_b32 s2, vcc_lo
	s_cbranch_execz .LBB0_25
; %bb.24:
	ds_store_b128 v17, v[124:127]
	ds_store_b128 v17, v[128:131] offset:16
	ds_store_b128 v17, v[44:47] offset:32
	;; [unrolled: 1-line block ×3, first 2 shown]
.LBB0_25:
	s_or_b32 exec_lo, exec_lo, s2
	s_waitcnt lgkmcnt(0)
	s_barrier
	buffer_gl0_inv
	ds_load_b128 v[132:135], v223
	ds_load_b128 v[136:139], v223 offset:2816
	ds_load_b128 v[152:155], v223 offset:12672
	;; [unrolled: 1-line block ×7, first 2 shown]
	s_and_saveexec_b32 s2, s0
	s_cbranch_execz .LBB0_27
; %bb.26:
	ds_load_b128 v[124:127], v223 offset:11264
	ds_load_b128 v[128:131], v223 offset:23936
.LBB0_27:
	s_or_b32 exec_lo, exec_lo, s2
	s_waitcnt lgkmcnt(5)
	v_mul_f64 v[164:165], v[38:39], v[154:155]
	v_mul_f64 v[166:167], v[38:39], v[152:153]
	s_waitcnt lgkmcnt(4)
	v_mul_f64 v[169:170], v[38:39], v[150:151]
	v_mul_f64 v[171:172], v[38:39], v[148:149]
	;; [unrolled: 3-line block ×4, first 2 shown]
	v_mul_f64 v[184:185], v[38:39], v[130:131]
	v_mul_f64 v[38:39], v[38:39], v[128:129]
	s_barrier
	buffer_gl0_inv
	v_fma_f64 v[152:153], v[36:37], v[152:153], v[164:165]
	v_fma_f64 v[154:155], v[36:37], v[154:155], -v[166:167]
	v_fma_f64 v[148:149], v[36:37], v[148:149], v[169:170]
	v_fma_f64 v[150:151], v[36:37], v[150:151], -v[171:172]
	;; [unrolled: 2-line block ×5, first 2 shown]
	v_add_f64 v[128:129], v[132:133], -v[152:153]
	v_add_f64 v[130:131], v[134:135], -v[154:155]
	;; [unrolled: 1-line block ×10, first 2 shown]
	v_fma_f64 v[132:133], v[132:133], 2.0, -v[128:129]
	v_fma_f64 v[134:135], v[134:135], 2.0, -v[130:131]
	;; [unrolled: 1-line block ×10, first 2 shown]
	ds_store_b128 v27, v[132:135]
	ds_store_b128 v27, v[128:131] offset:64
	ds_store_b128 v22, v[136:139]
	ds_store_b128 v22, v[148:151] offset:64
	;; [unrolled: 2-line block ×4, first 2 shown]
	s_and_saveexec_b32 s2, s0
	s_cbranch_execz .LBB0_29
; %bb.28:
	v_and_or_b32 v124, 0x7f8, v16, v18
	s_delay_alu instid0(VALU_DEP_1)
	v_lshlrev_b32_e32 v124, 4, v124
	ds_store_b128 v124, v[152:155]
	ds_store_b128 v124, v[36:39] offset:64
.LBB0_29:
	s_or_b32 exec_lo, exec_lo, s2
	s_waitcnt lgkmcnt(0)
	s_barrier
	buffer_gl0_inv
	ds_load_b128 v[128:131], v223
	ds_load_b128 v[136:139], v223 offset:2816
	ds_load_b128 v[132:135], v223 offset:12672
	;; [unrolled: 1-line block ×7, first 2 shown]
	s_and_saveexec_b32 s2, s0
	s_cbranch_execz .LBB0_31
; %bb.30:
	ds_load_b128 v[152:155], v223 offset:11264
	ds_load_b128 v[36:39], v223 offset:23936
.LBB0_31:
	s_or_b32 exec_lo, exec_lo, s2
	s_waitcnt lgkmcnt(5)
	v_mul_f64 v[160:161], v[42:43], v[134:135]
	v_mul_f64 v[162:163], v[42:43], v[132:133]
	s_waitcnt lgkmcnt(4)
	v_mul_f64 v[164:165], v[42:43], v[126:127]
	v_mul_f64 v[166:167], v[42:43], v[124:125]
	;; [unrolled: 3-line block ×4, first 2 shown]
	v_mul_f64 v[180:181], v[42:43], v[38:39]
	v_mul_f64 v[42:43], v[42:43], v[36:37]
	s_barrier
	buffer_gl0_inv
	v_fma_f64 v[132:133], v[40:41], v[132:133], v[160:161]
	v_fma_f64 v[134:135], v[40:41], v[134:135], -v[162:163]
	v_fma_f64 v[124:125], v[40:41], v[124:125], v[164:165]
	v_fma_f64 v[126:127], v[40:41], v[126:127], -v[166:167]
	;; [unrolled: 2-line block ×5, first 2 shown]
	v_add_f64 v[40:41], v[128:129], -v[132:133]
	v_add_f64 v[42:43], v[130:131], -v[134:135]
	;; [unrolled: 1-line block ×10, first 2 shown]
	v_fma_f64 v[36:37], v[128:129], 2.0, -v[40:41]
	v_fma_f64 v[38:39], v[130:131], 2.0, -v[42:43]
	;; [unrolled: 1-line block ×10, first 2 shown]
	ds_store_b128 v29, v[36:39]
	ds_store_b128 v29, v[40:43] offset:128
	ds_store_b128 v25, v[128:131]
	ds_store_b128 v25, v[124:127] offset:128
	ds_store_b128 v28, v[136:139]
	ds_store_b128 v28, v[132:135] offset:128
	ds_store_b128 v26, v[148:151]
	ds_store_b128 v26, v[140:143] offset:128
	s_and_saveexec_b32 s2, s0
	s_cbranch_execz .LBB0_33
; %bb.32:
	v_and_or_b32 v156, 0x7f0, v16, v20
	s_delay_alu instid0(VALU_DEP_1)
	v_lshlrev_b32_e32 v156, 4, v156
	ds_store_b128 v156, v[152:155]
	ds_store_b128 v156, v[144:147] offset:128
.LBB0_33:
	s_or_b32 exec_lo, exec_lo, s2
	s_waitcnt lgkmcnt(0)
	s_barrier
	buffer_gl0_inv
	s_and_saveexec_b32 s0, s1
	s_cbranch_execz .LBB0_35
; %bb.34:
	ds_load_b128 v[36:39], v223
	ds_load_b128 v[40:43], v223 offset:2304
	ds_load_b128 v[128:131], v223 offset:4608
	;; [unrolled: 1-line block ×10, first 2 shown]
.LBB0_35:
	s_or_b32 exec_lo, exec_lo, s0
	s_waitcnt lgkmcnt(0)
	s_barrier
	buffer_gl0_inv
	s_and_saveexec_b32 s30, s1
	s_cbranch_execz .LBB0_37
; %bb.36:
	v_mul_f64 v[156:157], v[34:35], v[40:41]
	v_mul_f64 v[34:35], v[34:35], v[42:43]
	s_mov_b32 s25, 0x3fed1bb4
	s_mov_b32 s24, 0x8eee2c13
	;; [unrolled: 1-line block ×26, first 2 shown]
	s_delay_alu instid0(VALU_DEP_2) | instskip(NEXT) | instid1(VALU_DEP_2)
	v_fma_f64 v[156:157], v[32:33], v[42:43], -v[156:157]
	v_fma_f64 v[158:159], v[32:33], v[40:41], v[34:35]
	v_mul_f64 v[32:33], v[78:79], v[134:135]
	v_mul_f64 v[34:35], v[78:79], v[132:133]
	;; [unrolled: 1-line block ×3, first 2 shown]
	s_delay_alu instid0(VALU_DEP_3) | instskip(NEXT) | instid1(VALU_DEP_3)
	v_fma_f64 v[32:33], v[76:77], v[132:133], v[32:33]
	v_fma_f64 v[40:41], v[76:77], v[134:135], -v[34:35]
	v_mul_f64 v[76:77], v[70:71], v[138:139]
	v_mul_f64 v[70:71], v[70:71], v[136:137]
	;; [unrolled: 1-line block ×3, first 2 shown]
	v_fma_f64 v[42:43], v[80:81], v[150:151], -v[42:43]
	s_delay_alu instid0(VALU_DEP_4) | instskip(NEXT) | instid1(VALU_DEP_4)
	v_fma_f64 v[76:77], v[68:69], v[136:137], v[76:77]
	v_fma_f64 v[78:79], v[68:69], v[138:139], -v[70:71]
	v_mul_f64 v[68:69], v[74:75], v[142:143]
	v_mul_f64 v[70:71], v[74:75], v[140:141]
	v_fma_f64 v[34:35], v[80:81], v[148:149], v[34:35]
	v_add_f64 v[206:207], v[42:43], v[40:41]
	s_delay_alu instid0(VALU_DEP_4) | instskip(NEXT) | instid1(VALU_DEP_4)
	v_fma_f64 v[68:69], v[72:73], v[140:141], v[68:69]
	v_fma_f64 v[70:71], v[72:73], v[142:143], -v[70:71]
	v_mul_f64 v[72:73], v[62:63], v[126:127]
	v_mul_f64 v[62:63], v[62:63], v[124:125]
	v_add_f64 v[140:141], v[32:33], -v[34:35]
	v_add_f64 v[142:143], v[40:41], -v[42:43]
	v_add_f64 v[210:211], v[34:35], v[32:33]
	v_fma_f64 v[72:73], v[60:61], v[124:125], v[72:73]
	v_fma_f64 v[74:75], v[60:61], v[126:127], -v[62:63]
	v_mul_f64 v[60:61], v[66:67], v[154:155]
	v_mul_f64 v[62:63], v[66:67], v[152:153]
	;; [unrolled: 1-line block ×6, first 2 shown]
	v_fma_f64 v[60:61], v[64:65], v[152:153], v[60:61]
	v_fma_f64 v[62:63], v[64:65], v[154:155], -v[62:63]
	v_mul_f64 v[64:65], v[54:55], v[130:131]
	v_mul_f64 v[54:55], v[54:55], v[128:129]
	s_delay_alu instid0(VALU_DEP_2) | instskip(NEXT) | instid1(VALU_DEP_2)
	v_fma_f64 v[64:65], v[52:53], v[128:129], v[64:65]
	v_fma_f64 v[66:67], v[52:53], v[130:131], -v[54:55]
	v_mul_f64 v[52:53], v[58:59], v[146:147]
	v_mul_f64 v[54:55], v[58:59], v[144:145]
	v_add_f64 v[58:59], v[78:79], -v[70:71]
	s_delay_alu instid0(VALU_DEP_3) | instskip(NEXT) | instid1(VALU_DEP_3)
	v_fma_f64 v[52:53], v[56:57], v[144:145], v[52:53]
	v_fma_f64 v[56:57], v[56:57], v[146:147], -v[54:55]
	v_mul_f64 v[54:55], v[50:51], v[46:47]
	v_add_f64 v[144:145], v[72:73], -v[60:61]
	v_add_f64 v[146:147], v[74:75], -v[62:63]
	v_add_f64 v[190:191], v[64:65], -v[52:53]
	v_add_f64 v[192:193], v[56:57], v[66:67]
	v_fma_f64 v[54:55], v[48:49], v[44:45], v[54:55]
	v_mul_f64 v[44:45], v[50:51], v[44:45]
	v_add_f64 v[50:51], v[76:77], -v[68:69]
	v_mul_f64 v[132:133], v[144:145], s[24:25]
	v_mul_f64 v[134:135], v[146:147], s[24:25]
	v_add_f64 v[194:195], v[52:53], v[64:65]
	v_mul_f64 v[198:199], v[146:147], s[18:19]
	v_add_f64 v[80:81], v[158:159], -v[54:55]
	v_fma_f64 v[44:45], v[48:49], v[46:47], -v[44:45]
	v_mul_f64 v[46:47], v[50:51], s[24:25]
	v_mul_f64 v[48:49], v[58:59], s[24:25]
	s_mov_b32 s25, 0xbfed1bb4
	v_add_f64 v[170:171], v[54:55], v[158:159]
	v_add_f64 v[158:159], v[36:37], v[158:159]
	v_mul_f64 v[82:83], v[80:81], s[22:23]
	v_mul_f64 v[128:129], v[80:81], s[18:19]
	;; [unrolled: 1-line block ×5, first 2 shown]
	v_add_f64 v[138:139], v[44:45], v[156:157]
	s_delay_alu instid0(VALU_DEP_1)
	v_fma_f64 v[148:149], v[138:139], s[12:13], v[82:83]
	v_fma_f64 v[82:83], v[138:139], s[12:13], -v[82:83]
	v_fma_f64 v[150:151], v[138:139], s[10:11], v[128:129]
	v_fma_f64 v[128:129], v[138:139], s[10:11], -v[128:129]
	;; [unrolled: 2-line block ×4, first 2 shown]
	v_fma_f64 v[160:161], v[138:139], s[2:3], -v[80:81]
	v_fma_f64 v[80:81], v[138:139], s[2:3], v[80:81]
	v_add_f64 v[138:139], v[156:157], -v[44:45]
	v_add_f64 v[156:157], v[38:39], v[156:157]
	v_add_f64 v[148:149], v[38:39], v[148:149]
	;; [unrolled: 1-line block ×10, first 2 shown]
	v_mul_f64 v[162:163], v[138:139], s[22:23]
	v_mul_f64 v[164:165], v[138:139], s[18:19]
	;; [unrolled: 1-line block ×6, first 2 shown]
	v_fma_f64 v[172:173], v[170:171], s[12:13], -v[162:163]
	v_fma_f64 v[162:163], v[170:171], s[12:13], v[162:163]
	v_fma_f64 v[178:179], v[170:171], s[10:11], -v[164:165]
	v_fma_f64 v[164:165], v[170:171], s[10:11], v[164:165]
	;; [unrolled: 2-line block ×3, first 2 shown]
	v_fma_f64 v[182:183], v[170:171], s[14:15], v[168:169]
	v_fma_f64 v[168:169], v[170:171], s[14:15], -v[168:169]
	v_fma_f64 v[184:185], v[170:171], s[2:3], v[138:139]
	v_fma_f64 v[138:139], v[170:171], s[2:3], -v[138:139]
	v_add_f64 v[170:171], v[36:37], v[172:173]
	v_add_f64 v[162:163], v[36:37], v[162:163]
	;; [unrolled: 1-line block ×10, first 2 shown]
	v_fma_f64 v[36:37], v[192:193], s[14:15], v[80:81]
	v_add_f64 v[180:181], v[38:39], v[130:131]
	v_mul_f64 v[138:139], v[144:145], s[18:19]
	v_fma_f64 v[80:81], v[192:193], s[14:15], -v[80:81]
	s_delay_alu instid0(VALU_DEP_4) | instskip(SKIP_1) | instid1(VALU_DEP_3)
	v_add_f64 v[36:37], v[36:37], v[148:149]
	v_add_f64 v[148:149], v[66:67], -v[56:57]
	v_add_f64 v[80:81], v[80:81], v[82:83]
	s_delay_alu instid0(VALU_DEP_2) | instskip(NEXT) | instid1(VALU_DEP_1)
	v_mul_f64 v[130:131], v[148:149], s[16:17]
	v_fma_f64 v[38:39], v[194:195], s[14:15], -v[130:131]
	v_fma_f64 v[82:83], v[194:195], s[14:15], v[130:131]
	s_delay_alu instid0(VALU_DEP_2) | instskip(SKIP_1) | instid1(VALU_DEP_3)
	v_add_f64 v[38:39], v[38:39], v[170:171]
	v_add_f64 v[170:171], v[74:75], v[62:63]
	;; [unrolled: 1-line block ×3, first 2 shown]
	s_delay_alu instid0(VALU_DEP_2) | instskip(SKIP_2) | instid1(VALU_DEP_3)
	v_fma_f64 v[196:197], v[170:171], s[10:11], v[138:139]
	v_fma_f64 v[130:131], v[170:171], s[10:11], -v[138:139]
	v_mul_f64 v[138:139], v[148:149], s[28:29]
	v_add_f64 v[36:37], v[196:197], v[36:37]
	v_add_f64 v[196:197], v[72:73], v[60:61]
	s_delay_alu instid0(VALU_DEP_4) | instskip(NEXT) | instid1(VALU_DEP_2)
	v_add_f64 v[80:81], v[130:131], v[80:81]
	v_fma_f64 v[200:201], v[196:197], s[10:11], -v[198:199]
	v_fma_f64 v[130:131], v[196:197], s[10:11], v[198:199]
	s_delay_alu instid0(VALU_DEP_2) | instskip(SKIP_1) | instid1(VALU_DEP_3)
	v_add_f64 v[38:39], v[200:201], v[38:39]
	v_add_f64 v[200:201], v[78:79], v[70:71]
	;; [unrolled: 1-line block ×3, first 2 shown]
	v_mul_f64 v[130:131], v[190:191], s[28:29]
	s_delay_alu instid0(VALU_DEP_3) | instskip(SKIP_1) | instid1(VALU_DEP_2)
	v_fma_f64 v[202:203], v[200:201], s[2:3], v[46:47]
	v_fma_f64 v[46:47], v[200:201], s[2:3], -v[46:47]
	v_add_f64 v[36:37], v[202:203], v[36:37]
	v_add_f64 v[202:203], v[76:77], v[68:69]
	s_delay_alu instid0(VALU_DEP_3) | instskip(NEXT) | instid1(VALU_DEP_2)
	v_add_f64 v[46:47], v[46:47], v[80:81]
	v_fma_f64 v[204:205], v[202:203], s[2:3], -v[48:49]
	v_fma_f64 v[48:49], v[202:203], s[2:3], v[48:49]
	s_delay_alu instid0(VALU_DEP_2) | instskip(NEXT) | instid1(VALU_DEP_2)
	v_add_f64 v[204:205], v[204:205], v[38:39]
	v_add_f64 v[80:81], v[48:49], v[82:83]
	v_fma_f64 v[48:49], v[206:207], s[0:1], -v[208:209]
	v_fma_f64 v[82:83], v[210:211], s[0:1], v[212:213]
	v_fma_f64 v[38:39], v[206:207], s[0:1], v[208:209]
	s_delay_alu instid0(VALU_DEP_3) | instskip(NEXT) | instid1(VALU_DEP_3)
	v_add_f64 v[48:49], v[48:49], v[46:47]
	v_add_f64 v[46:47], v[82:83], v[80:81]
	v_fma_f64 v[80:81], v[192:193], s[0:1], v[130:131]
	v_fma_f64 v[82:83], v[194:195], s[0:1], -v[138:139]
	v_fma_f64 v[130:131], v[192:193], s[0:1], -v[130:131]
	v_add_f64 v[38:39], v[38:39], v[36:37]
	v_fma_f64 v[36:37], v[210:211], s[0:1], -v[212:213]
	v_add_f64 v[80:81], v[80:81], v[150:151]
	v_mul_f64 v[150:151], v[144:145], s[26:27]
	v_add_f64 v[82:83], v[82:83], v[172:173]
	v_add_f64 v[128:129], v[130:131], v[128:129]
	v_fma_f64 v[130:131], v[194:195], s[0:1], v[138:139]
	v_add_f64 v[36:37], v[36:37], v[204:205]
	v_fma_f64 v[162:163], v[170:171], s[14:15], v[150:151]
	v_fma_f64 v[138:139], v[170:171], s[14:15], -v[150:151]
	v_mul_f64 v[150:151], v[148:149], s[34:35]
	v_add_f64 v[130:131], v[130:131], v[164:165]
	s_delay_alu instid0(VALU_DEP_4) | instskip(SKIP_2) | instid1(VALU_DEP_2)
	v_add_f64 v[80:81], v[162:163], v[80:81]
	v_mul_f64 v[162:163], v[146:147], s[26:27]
	v_add_f64 v[128:129], v[138:139], v[128:129]
	v_fma_f64 v[172:173], v[196:197], s[14:15], -v[162:163]
	v_fma_f64 v[138:139], v[196:197], s[14:15], v[162:163]
	s_delay_alu instid0(VALU_DEP_2) | instskip(SKIP_1) | instid1(VALU_DEP_3)
	v_add_f64 v[82:83], v[172:173], v[82:83]
	v_mul_f64 v[172:173], v[50:51], s[22:23]
	v_add_f64 v[130:131], v[138:139], v[130:131]
	s_delay_alu instid0(VALU_DEP_2) | instskip(SKIP_2) | instid1(VALU_DEP_3)
	v_fma_f64 v[198:199], v[200:201], s[12:13], v[172:173]
	v_fma_f64 v[138:139], v[200:201], s[12:13], -v[172:173]
	v_mul_f64 v[172:173], v[140:141], s[18:19]
	v_add_f64 v[80:81], v[198:199], v[80:81]
	v_mul_f64 v[198:199], v[58:59], s[22:23]
	s_delay_alu instid0(VALU_DEP_4) | instskip(NEXT) | instid1(VALU_DEP_2)
	v_add_f64 v[128:129], v[138:139], v[128:129]
	v_fma_f64 v[204:205], v[202:203], s[12:13], -v[198:199]
	v_fma_f64 v[138:139], v[202:203], s[12:13], v[198:199]
	v_mul_f64 v[198:199], v[142:143], s[16:17]
	s_delay_alu instid0(VALU_DEP_3) | instskip(SKIP_1) | instid1(VALU_DEP_4)
	v_add_f64 v[204:205], v[204:205], v[82:83]
	v_fma_f64 v[82:83], v[206:207], s[2:3], v[124:125]
	v_add_f64 v[130:131], v[138:139], v[130:131]
	v_fma_f64 v[124:125], v[206:207], s[2:3], -v[124:125]
	v_fma_f64 v[138:139], v[210:211], s[2:3], v[126:127]
	s_delay_alu instid0(VALU_DEP_4) | instskip(SKIP_1) | instid1(VALU_DEP_4)
	v_add_f64 v[82:83], v[82:83], v[80:81]
	v_fma_f64 v[80:81], v[210:211], s[2:3], -v[126:127]
	v_add_f64 v[126:127], v[124:125], v[128:129]
	s_delay_alu instid0(VALU_DEP_4) | instskip(SKIP_4) | instid1(VALU_DEP_4)
	v_add_f64 v[124:125], v[138:139], v[130:131]
	v_mul_f64 v[138:139], v[190:191], s[34:35]
	v_fma_f64 v[130:131], v[194:195], s[12:13], -v[150:151]
	v_fma_f64 v[150:151], v[194:195], s[12:13], v[150:151]
	v_add_f64 v[80:81], v[80:81], v[204:205]
	v_fma_f64 v[128:129], v[192:193], s[12:13], v[138:139]
	s_delay_alu instid0(VALU_DEP_4)
	v_add_f64 v[130:131], v[130:131], v[178:179]
	v_fma_f64 v[138:139], v[192:193], s[12:13], -v[138:139]
	v_add_f64 v[150:151], v[150:151], v[166:167]
	v_mul_f64 v[178:179], v[142:143], s[18:19]
	v_add_f64 v[128:129], v[128:129], v[152:153]
	v_fma_f64 v[152:153], v[170:171], s[2:3], v[132:133]
	v_add_f64 v[138:139], v[138:139], v[180:181]
	v_fma_f64 v[132:133], v[170:171], s[2:3], -v[132:133]
	v_mul_f64 v[180:181], v[140:141], s[22:23]
	s_delay_alu instid0(VALU_DEP_4) | instskip(SKIP_1) | instid1(VALU_DEP_4)
	v_add_f64 v[128:129], v[152:153], v[128:129]
	v_fma_f64 v[152:153], v[196:197], s[2:3], -v[134:135]
	v_add_f64 v[132:133], v[132:133], v[138:139]
	v_fma_f64 v[134:135], v[196:197], s[2:3], v[134:135]
	s_delay_alu instid0(VALU_DEP_3) | instskip(SKIP_1) | instid1(VALU_DEP_3)
	v_add_f64 v[130:131], v[152:153], v[130:131]
	v_mul_f64 v[152:153], v[50:51], s[26:27]
	v_add_f64 v[134:135], v[134:135], v[150:151]
	v_fma_f64 v[150:151], v[210:211], s[10:11], v[178:179]
	s_delay_alu instid0(VALU_DEP_3) | instskip(SKIP_3) | instid1(VALU_DEP_4)
	v_fma_f64 v[162:163], v[200:201], s[14:15], v[152:153]
	v_fma_f64 v[138:139], v[200:201], s[14:15], -v[152:153]
	v_mul_f64 v[152:153], v[148:149], s[24:25]
	v_mul_f64 v[148:149], v[148:149], s[18:19]
	v_add_f64 v[128:129], v[162:163], v[128:129]
	v_mul_f64 v[162:163], v[58:59], s[26:27]
	v_add_f64 v[132:133], v[138:139], v[132:133]
	s_delay_alu instid0(VALU_DEP_2) | instskip(SKIP_3) | instid1(VALU_DEP_4)
	v_fma_f64 v[138:139], v[202:203], s[14:15], v[162:163]
	v_fma_f64 v[164:165], v[202:203], s[14:15], -v[162:163]
	v_mul_f64 v[162:163], v[144:145], s[20:21]
	v_mul_f64 v[144:145], v[144:145], s[34:35]
	v_add_f64 v[138:139], v[138:139], v[134:135]
	v_fma_f64 v[134:135], v[206:207], s[10:11], -v[172:173]
	v_add_f64 v[164:165], v[164:165], v[130:131]
	v_fma_f64 v[130:131], v[206:207], s[10:11], v[172:173]
	s_delay_alu instid0(VALU_DEP_3) | instskip(SKIP_2) | instid1(VALU_DEP_4)
	v_add_f64 v[134:135], v[134:135], v[132:133]
	v_add_f64 v[132:133], v[150:151], v[138:139]
	v_mul_f64 v[150:151], v[190:191], s[24:25]
	v_add_f64 v[130:131], v[130:131], v[128:129]
	v_fma_f64 v[128:129], v[210:211], s[10:11], -v[178:179]
	s_delay_alu instid0(VALU_DEP_3) | instskip(NEXT) | instid1(VALU_DEP_2)
	v_fma_f64 v[138:139], v[192:193], s[2:3], -v[150:151]
	v_add_f64 v[128:129], v[128:129], v[164:165]
	v_fma_f64 v[164:165], v[170:171], s[0:1], -v[162:163]
	s_delay_alu instid0(VALU_DEP_3) | instskip(SKIP_1) | instid1(VALU_DEP_2)
	v_add_f64 v[136:137], v[138:139], v[136:137]
	v_fma_f64 v[138:139], v[194:195], s[2:3], v[152:153]
	v_add_f64 v[136:137], v[164:165], v[136:137]
	v_mul_f64 v[164:165], v[146:147], s[20:21]
	s_delay_alu instid0(VALU_DEP_3) | instskip(SKIP_2) | instid1(VALU_DEP_4)
	v_add_f64 v[138:139], v[138:139], v[182:183]
	v_mul_f64 v[182:183], v[142:143], s[22:23]
	v_mul_f64 v[146:147], v[146:147], s[34:35]
	v_fma_f64 v[166:167], v[196:197], s[0:1], v[164:165]
	s_delay_alu instid0(VALU_DEP_1) | instskip(SKIP_2) | instid1(VALU_DEP_2)
	v_add_f64 v[138:139], v[166:167], v[138:139]
	v_mul_f64 v[166:167], v[50:51], s[18:19]
	v_mul_f64 v[50:51], v[50:51], s[28:29]
	v_fma_f64 v[172:173], v[200:201], s[10:11], -v[166:167]
	s_delay_alu instid0(VALU_DEP_1) | instskip(SKIP_2) | instid1(VALU_DEP_2)
	v_add_f64 v[136:137], v[172:173], v[136:137]
	v_mul_f64 v[172:173], v[58:59], s[18:19]
	v_mul_f64 v[58:59], v[58:59], s[28:29]
	v_fma_f64 v[178:179], v[202:203], s[10:11], v[172:173]
	s_delay_alu instid0(VALU_DEP_1) | instskip(SKIP_1) | instid1(VALU_DEP_1)
	v_add_f64 v[178:179], v[178:179], v[138:139]
	v_fma_f64 v[138:139], v[206:207], s[12:13], -v[180:181]
	v_add_f64 v[138:139], v[138:139], v[136:137]
	v_fma_f64 v[136:137], v[210:211], s[12:13], v[182:183]
	s_delay_alu instid0(VALU_DEP_1) | instskip(SKIP_1) | instid1(VALU_DEP_1)
	v_add_f64 v[136:137], v[136:137], v[178:179]
	v_mul_f64 v[178:179], v[190:191], s[18:19]
	v_fma_f64 v[190:191], v[192:193], s[10:11], -v[178:179]
	s_delay_alu instid0(VALU_DEP_1) | instskip(SKIP_2) | instid1(VALU_DEP_2)
	v_add_f64 v[160:161], v[190:191], v[160:161]
	v_fma_f64 v[190:191], v[194:195], s[10:11], v[148:149]
	v_fma_f64 v[148:149], v[194:195], s[10:11], -v[148:149]
	v_add_f64 v[184:185], v[190:191], v[184:185]
	v_fma_f64 v[190:191], v[170:171], s[12:13], -v[144:145]
	v_fma_f64 v[144:145], v[170:171], s[12:13], v[144:145]
	s_delay_alu instid0(VALU_DEP_4) | instskip(NEXT) | instid1(VALU_DEP_3)
	v_add_f64 v[148:149], v[148:149], v[188:189]
	v_add_f64 v[160:161], v[190:191], v[160:161]
	v_fma_f64 v[190:191], v[196:197], s[12:13], v[146:147]
	v_fma_f64 v[146:147], v[196:197], s[12:13], -v[146:147]
	s_delay_alu instid0(VALU_DEP_2) | instskip(SKIP_2) | instid1(VALU_DEP_4)
	v_add_f64 v[184:185], v[190:191], v[184:185]
	v_fma_f64 v[190:191], v[200:201], s[0:1], -v[50:51]
	v_fma_f64 v[50:51], v[200:201], s[0:1], v[50:51]
	v_add_f64 v[146:147], v[146:147], v[148:149]
	v_fma_f64 v[148:149], v[210:211], s[14:15], -v[198:199]
	s_delay_alu instid0(VALU_DEP_4) | instskip(SKIP_2) | instid1(VALU_DEP_2)
	v_add_f64 v[160:161], v[190:191], v[160:161]
	v_fma_f64 v[190:191], v[202:203], s[0:1], v[58:59]
	v_fma_f64 v[58:59], v[202:203], s[0:1], -v[58:59]
	v_add_f64 v[184:185], v[190:191], v[184:185]
	v_mul_f64 v[190:191], v[140:141], s[16:17]
	s_delay_alu instid0(VALU_DEP_3) | instskip(NEXT) | instid1(VALU_DEP_2)
	v_add_f64 v[58:59], v[58:59], v[146:147]
	v_fma_f64 v[140:141], v[206:207], s[14:15], -v[190:191]
	s_delay_alu instid0(VALU_DEP_1) | instskip(SKIP_2) | instid1(VALU_DEP_2)
	v_add_f64 v[142:143], v[140:141], v[160:161]
	v_fma_f64 v[160:161], v[192:193], s[10:11], v[178:179]
	v_fma_f64 v[140:141], v[210:211], s[14:15], v[198:199]
	v_add_f64 v[160:161], v[160:161], v[186:187]
	s_delay_alu instid0(VALU_DEP_2) | instskip(NEXT) | instid1(VALU_DEP_2)
	v_add_f64 v[140:141], v[140:141], v[184:185]
	v_add_f64 v[144:145], v[144:145], v[160:161]
	s_delay_alu instid0(VALU_DEP_1) | instskip(SKIP_1) | instid1(VALU_DEP_1)
	v_add_f64 v[50:51], v[50:51], v[144:145]
	v_fma_f64 v[144:145], v[206:207], s[14:15], v[190:191]
	v_add_f64 v[146:147], v[144:145], v[50:51]
	v_add_f64 v[50:51], v[66:67], v[156:157]
	;; [unrolled: 1-line block ×4, first 2 shown]
	s_delay_alu instid0(VALU_DEP_3) | instskip(NEXT) | instid1(VALU_DEP_2)
	v_add_f64 v[50:51], v[74:75], v[50:51]
	v_add_f64 v[58:59], v[72:73], v[58:59]
	s_delay_alu instid0(VALU_DEP_2) | instskip(NEXT) | instid1(VALU_DEP_2)
	v_add_f64 v[50:51], v[78:79], v[50:51]
	v_add_f64 v[58:59], v[76:77], v[58:59]
	s_delay_alu instid0(VALU_DEP_2) | instskip(SKIP_1) | instid1(VALU_DEP_3)
	v_add_f64 v[40:41], v[40:41], v[50:51]
	v_fma_f64 v[50:51], v[196:197], s[0:1], -v[164:165]
	v_add_f64 v[32:33], v[32:33], v[58:59]
	s_delay_alu instid0(VALU_DEP_3) | instskip(SKIP_1) | instid1(VALU_DEP_3)
	v_add_f64 v[40:41], v[42:43], v[40:41]
	v_fma_f64 v[42:43], v[194:195], s[2:3], -v[152:153]
	v_add_f64 v[32:33], v[34:35], v[32:33]
	s_delay_alu instid0(VALU_DEP_3) | instskip(SKIP_1) | instid1(VALU_DEP_3)
	v_add_f64 v[34:35], v[70:71], v[40:41]
	v_fma_f64 v[40:41], v[192:193], s[2:3], v[150:151]
	v_add_f64 v[32:33], v[68:69], v[32:33]
	v_add_f64 v[42:43], v[42:43], v[168:169]
	s_delay_alu instid0(VALU_DEP_4) | instskip(NEXT) | instid1(VALU_DEP_4)
	v_add_f64 v[34:35], v[62:63], v[34:35]
	v_add_f64 v[40:41], v[40:41], v[154:155]
	s_delay_alu instid0(VALU_DEP_4) | instskip(NEXT) | instid1(VALU_DEP_4)
	v_add_f64 v[32:33], v[60:61], v[32:33]
	v_add_f64 v[42:43], v[50:51], v[42:43]
	v_fma_f64 v[50:51], v[210:211], s[12:13], -v[182:183]
	v_add_f64 v[34:35], v[56:57], v[34:35]
	s_delay_alu instid0(VALU_DEP_4) | instskip(SKIP_1) | instid1(VALU_DEP_3)
	v_add_f64 v[32:33], v[52:53], v[32:33]
	v_fma_f64 v[52:53], v[200:201], s[10:11], v[166:167]
	v_add_f64 v[34:35], v[44:45], v[34:35]
	v_fma_f64 v[44:45], v[170:171], s[0:1], v[162:163]
	s_delay_alu instid0(VALU_DEP_4) | instskip(SKIP_1) | instid1(VALU_DEP_3)
	v_add_f64 v[32:33], v[54:55], v[32:33]
	v_fma_f64 v[54:55], v[202:203], s[10:11], -v[172:173]
	v_add_f64 v[40:41], v[44:45], v[40:41]
	v_fma_f64 v[44:45], v[206:207], s[12:13], v[180:181]
	s_delay_alu instid0(VALU_DEP_2) | instskip(NEXT) | instid1(VALU_DEP_4)
	v_add_f64 v[40:41], v[52:53], v[40:41]
	v_add_f64 v[52:53], v[54:55], v[42:43]
	s_delay_alu instid0(VALU_DEP_2) | instskip(NEXT) | instid1(VALU_DEP_2)
	v_add_f64 v[42:43], v[44:45], v[40:41]
	v_add_f64 v[40:41], v[50:51], v[52:53]
	v_mul_u32_u24_e32 v44, 0xb0, v224
	s_delay_alu instid0(VALU_DEP_1) | instskip(NEXT) | instid1(VALU_DEP_1)
	v_or_b32_e32 v44, v44, v0
	v_lshlrev_b32_e32 v44, 4, v44
	ds_store_b128 v44, v[124:127] offset:1024
	ds_store_b128 v44, v[46:49] offset:1280
	;; [unrolled: 1-line block ×9, first 2 shown]
	ds_store_b128 v44, v[32:35]
	ds_store_b128 v44, v[40:43] offset:2560
.LBB0_37:
	s_or_b32 exec_lo, exec_lo, s30
	s_waitcnt lgkmcnt(0)
	s_barrier
	buffer_gl0_inv
	ds_load_b128 v[32:35], v223 offset:8448
	ds_load_b128 v[36:39], v223 offset:16896
	ds_load_b128 v[40:43], v223 offset:11264
	ds_load_b128 v[44:47], v223 offset:19712
	ds_load_b128 v[48:51], v223 offset:14080
	ds_load_b128 v[52:55], v223 offset:22528
	ds_load_b128 v[56:59], v223 offset:5632
	s_mov_b32 s0, 0xe8584caa
	s_mov_b32 s1, 0xbfebb67a
	;; [unrolled: 1-line block ×4, first 2 shown]
	s_mul_hi_u32 s11, s4, 0xfffffc0c
	s_mul_i32 s10, s4, 0xfffffc0c
	s_waitcnt lgkmcnt(6)
	v_mul_f64 v[60:61], v[90:91], v[34:35]
	s_waitcnt lgkmcnt(5)
	v_mul_f64 v[62:63], v[86:87], v[38:39]
	v_mul_f64 v[64:65], v[90:91], v[32:33]
	v_mul_f64 v[66:67], v[86:87], v[36:37]
	s_waitcnt lgkmcnt(4)
	v_mul_f64 v[68:69], v[90:91], v[42:43]
	s_waitcnt lgkmcnt(3)
	v_mul_f64 v[70:71], v[86:87], v[46:47]
	v_mul_f64 v[72:73], v[90:91], v[40:41]
	v_mul_f64 v[74:75], v[86:87], v[44:45]
	;; [unrolled: 6-line block ×3, first 2 shown]
	v_fma_f64 v[60:61], v[88:89], v[32:33], v[60:61]
	v_fma_f64 v[62:63], v[84:85], v[36:37], v[62:63]
	v_fma_f64 v[64:65], v[88:89], v[34:35], -v[64:65]
	v_fma_f64 v[66:67], v[84:85], v[38:39], -v[66:67]
	v_fma_f64 v[40:41], v[88:89], v[40:41], v[68:69]
	v_fma_f64 v[44:45], v[84:85], v[44:45], v[70:71]
	v_fma_f64 v[42:43], v[88:89], v[42:43], -v[72:73]
	v_fma_f64 v[46:47], v[84:85], v[46:47], -v[74:75]
	;; [unrolled: 4-line block ×3, first 2 shown]
	ds_load_b128 v[32:35], v223
	ds_load_b128 v[36:39], v223 offset:2816
	s_waitcnt lgkmcnt(0)
	s_barrier
	buffer_gl0_inv
	v_add_f64 v[80:81], v[32:33], v[60:61]
	v_add_f64 v[68:69], v[60:61], v[62:63]
	v_add_f64 v[60:61], v[60:61], -v[62:63]
	v_add_f64 v[70:71], v[64:65], v[66:67]
	v_add_f64 v[82:83], v[64:65], -v[66:67]
	v_add_f64 v[72:73], v[40:41], v[44:45]
	v_add_f64 v[64:65], v[34:35], v[64:65]
	;; [unrolled: 1-line block ×9, first 2 shown]
	v_add_f64 v[92:93], v[42:43], -v[46:47]
	v_add_f64 v[94:95], v[40:41], -v[44:45]
	;; [unrolled: 1-line block ×4, first 2 shown]
	v_fma_f64 v[68:69], v[68:69], -0.5, v[32:33]
	v_add_f64 v[32:33], v[80:81], v[62:63]
	v_fma_f64 v[70:71], v[70:71], -0.5, v[34:35]
	v_fma_f64 v[72:73], v[72:73], -0.5, v[36:37]
	v_add_f64 v[34:35], v[64:65], v[66:67]
	v_fma_f64 v[74:75], v[74:75], -0.5, v[38:39]
	v_add_f64 v[36:37], v[84:85], v[44:45]
	;; [unrolled: 2-line block ×4, first 2 shown]
	v_add_f64 v[42:43], v[90:91], v[54:55]
	v_fma_f64 v[44:45], v[82:83], s[0:1], v[68:69]
	v_fma_f64 v[48:49], v[82:83], s[2:3], v[68:69]
	;; [unrolled: 1-line block ×12, first 2 shown]
	ds_store_b128 v223, v[32:35]
	ds_store_b128 v223, v[44:47] offset:2816
	ds_store_b128 v223, v[48:51] offset:5632
	;; [unrolled: 1-line block ×8, first 2 shown]
	s_waitcnt lgkmcnt(0)
	s_barrier
	buffer_gl0_inv
	ds_load_b128 v[32:35], v223 offset:8448
	ds_load_b128 v[36:39], v223 offset:16896
	;; [unrolled: 1-line block ×7, first 2 shown]
	s_waitcnt lgkmcnt(6)
	v_mul_f64 v[60:61], v[102:103], v[34:35]
	s_waitcnt lgkmcnt(5)
	v_mul_f64 v[62:63], v[106:107], v[38:39]
	v_mul_f64 v[64:65], v[102:103], v[32:33]
	v_mul_f64 v[66:67], v[106:107], v[36:37]
	s_waitcnt lgkmcnt(4)
	v_mul_f64 v[68:69], v[110:111], v[42:43]
	s_waitcnt lgkmcnt(3)
	v_mul_f64 v[70:71], v[114:115], v[46:47]
	v_mul_f64 v[72:73], v[110:111], v[40:41]
	v_mul_f64 v[74:75], v[114:115], v[44:45]
	;; [unrolled: 6-line block ×3, first 2 shown]
	v_fma_f64 v[60:61], v[100:101], v[32:33], v[60:61]
	v_fma_f64 v[62:63], v[104:105], v[36:37], v[62:63]
	v_fma_f64 v[64:65], v[100:101], v[34:35], -v[64:65]
	v_fma_f64 v[66:67], v[104:105], v[38:39], -v[66:67]
	v_fma_f64 v[40:41], v[108:109], v[40:41], v[68:69]
	v_fma_f64 v[44:45], v[112:113], v[44:45], v[70:71]
	v_fma_f64 v[42:43], v[108:109], v[42:43], -v[72:73]
	v_fma_f64 v[46:47], v[112:113], v[46:47], -v[74:75]
	;; [unrolled: 4-line block ×3, first 2 shown]
	ds_load_b128 v[32:35], v223
	ds_load_b128 v[36:39], v223 offset:2816
	s_waitcnt lgkmcnt(1)
	v_add_f64 v[80:81], v[32:33], v[60:61]
	v_add_f64 v[68:69], v[60:61], v[62:63]
	v_add_f64 v[60:61], v[60:61], -v[62:63]
	v_add_f64 v[70:71], v[64:65], v[66:67]
	v_add_f64 v[82:83], v[64:65], -v[66:67]
	v_add_f64 v[72:73], v[40:41], v[44:45]
	v_add_f64 v[64:65], v[34:35], v[64:65]
	;; [unrolled: 1-line block ×3, first 2 shown]
	s_waitcnt lgkmcnt(0)
	v_add_f64 v[84:85], v[36:37], v[40:41]
	v_add_f64 v[76:77], v[48:49], v[52:53]
	;; [unrolled: 1-line block ×4, first 2 shown]
	v_add_f64 v[92:93], v[42:43], -v[46:47]
	v_add_f64 v[94:95], v[40:41], -v[44:45]
	v_add_f64 v[88:89], v[56:57], v[48:49]
	v_add_f64 v[90:91], v[58:59], v[50:51]
	v_add_f64 v[96:97], v[50:51], -v[54:55]
	v_add_f64 v[98:99], v[48:49], -v[52:53]
	v_fma_f64 v[68:69], v[68:69], -0.5, v[32:33]
	v_add_f64 v[32:33], v[80:81], v[62:63]
	v_fma_f64 v[70:71], v[70:71], -0.5, v[34:35]
	v_mad_u64_u32 v[80:81], null, s6, v229, 0
	v_fma_f64 v[72:73], v[72:73], -0.5, v[36:37]
	v_fma_f64 v[74:75], v[74:75], -0.5, v[38:39]
	v_add_f64 v[34:35], v[64:65], v[66:67]
	v_fma_f64 v[76:77], v[76:77], -0.5, v[56:57]
	v_add_f64 v[36:37], v[84:85], v[44:45]
	;; [unrolled: 2-line block ×3, first 2 shown]
	s_mul_i32 s6, s4, 0x18c
	v_add_f64 v[40:41], v[88:89], v[52:53]
	v_add_f64 v[42:43], v[90:91], v[54:55]
	v_fma_f64 v[48:49], v[82:83], s[2:3], v[68:69]
	v_fma_f64 v[44:45], v[82:83], s[0:1], v[68:69]
	;; [unrolled: 1-line block ×4, first 2 shown]
	v_mad_u64_u32 v[82:83], null, s4, v232, 0
	v_fma_f64 v[56:57], v[92:93], s[2:3], v[72:73]
	v_fma_f64 v[58:59], v[94:95], s[0:1], v[74:75]
	;; [unrolled: 1-line block ×8, first 2 shown]
	v_mad_u64_u32 v[84:85], null, s7, v229, v[81:82]
	v_mov_b32_e32 v81, v83
	s_mul_i32 s1, s5, 0x18c
	s_mul_hi_u32 s7, s4, 0x18c
	s_mov_b32 s2, 0xa052bf5b
	s_add_i32 s7, s7, s1
	v_mad_u64_u32 v[85:86], null, s5, v232, v[81:82]
	s_delay_alu instid0(VALU_DEP_3)
	v_mov_b32_e32 v81, v84
	s_mov_b32 s3, 0x3f44afd6
	s_lshl_b64 s[6:7], s[6:7], 4
	ds_store_b128 v223, v[32:35]
	ds_store_b128 v223, v[36:39] offset:2816
	ds_store_b128 v223, v[48:51] offset:16896
	;; [unrolled: 1-line block ×8, first 2 shown]
	s_waitcnt lgkmcnt(0)
	s_barrier
	buffer_gl0_inv
	ds_load_b128 v[32:35], v223
	ds_load_b128 v[36:39], v223 offset:6336
	ds_load_b128 v[40:43], v223 offset:12672
	;; [unrolled: 1-line block ×7, first 2 shown]
	s_clause 0x4
	scratch_load_b128 v[12:15], off, off offset:32
	scratch_load_b128 v[24:27], off, off offset:48
	scratch_load_b128 v[4:7], off, off
	scratch_load_b128 v[8:11], off, off offset:16
	scratch_load_b128 v[28:31], off, off offset:64
	v_mov_b32_e32 v83, v85
	s_mulk_i32 s5, 0xfc0c
	s_sub_i32 s1, s11, s4
	s_delay_alu instid0(SALU_CYCLE_1) | instskip(NEXT) | instid1(SALU_CYCLE_1)
	s_add_i32 s11, s1, s5
	s_lshl_b64 s[4:5], s[10:11], 4
	s_waitcnt lgkmcnt(7)
	v_mul_f64 v[64:65], v[237:238], v[34:35]
	v_mul_f64 v[2:3], v[237:238], v[32:33]
	s_waitcnt lgkmcnt(3)
	v_mul_f64 v[72:73], v[250:251], v[50:51]
	s_waitcnt lgkmcnt(2)
	v_mul_f64 v[74:75], v[254:255], v[54:55]
	s_delay_alu instid0(VALU_DEP_4) | instskip(NEXT) | instid1(VALU_DEP_4)
	v_fma_f64 v[32:33], v[235:236], v[32:33], v[64:65]
	v_fma_f64 v[0:1], v[235:236], v[34:35], -v[2:3]
	v_lshlrev_b64 v[2:3], 4, v[80:81]
	s_delay_alu instid0(VALU_DEP_1) | instskip(NEXT) | instid1(VALU_DEP_1)
	v_add_co_u32 v2, s0, s8, v2
	v_add_co_ci_u32_e64 v3, s0, s9, v3, s0
	s_waitcnt vmcnt(4)
	v_mul_f64 v[66:67], v[14:15], v[38:39]
	v_mul_f64 v[22:23], v[14:15], v[36:37]
	s_waitcnt vmcnt(2)
	v_mul_f64 v[68:69], v[6:7], v[42:43]
	v_mul_f64 v[14:15], v[6:7], v[40:41]
	;; [unrolled: 3-line block ×3, first 2 shown]
	v_mul_f64 v[6:7], v[250:251], v[48:49]
	v_mul_f64 v[10:11], v[254:255], v[52:53]
	s_waitcnt lgkmcnt(1)
	v_mul_f64 v[76:77], v[26:27], v[58:59]
	v_mul_f64 v[26:27], v[26:27], v[56:57]
	s_waitcnt vmcnt(0) lgkmcnt(0)
	v_mul_f64 v[78:79], v[30:31], v[62:63]
	v_mul_f64 v[30:31], v[30:31], v[60:61]
	v_fma_f64 v[34:35], v[12:13], v[36:37], v[66:67]
	v_fma_f64 v[20:21], v[12:13], v[38:39], -v[22:23]
	v_fma_f64 v[22:23], v[4:5], v[40:41], v[68:69]
	v_fma_f64 v[12:13], v[4:5], v[42:43], -v[14:15]
	;; [unrolled: 2-line block ×7, first 2 shown]
	v_lshlrev_b64 v[4:5], 4, v[82:83]
	s_delay_alu instid0(VALU_DEP_1) | instskip(NEXT) | instid1(VALU_DEP_1)
	v_add_co_u32 v50, s0, v2, v4
	v_add_co_ci_u32_e64 v51, s0, v3, v5, s0
	v_mul_f64 v[2:3], v[32:33], s[2:3]
	v_mul_f64 v[4:5], v[0:1], s[2:3]
	s_delay_alu instid0(VALU_DEP_4) | instskip(NEXT) | instid1(VALU_DEP_1)
	v_add_co_u32 v52, s0, v50, s6
	v_add_co_ci_u32_e64 v53, s0, s7, v51, s0
	v_mul_f64 v[6:7], v[34:35], s[2:3]
	v_mul_f64 v[8:9], v[20:21], s[2:3]
	;; [unrolled: 1-line block ×12, first 2 shown]
	v_add_co_u32 v34, s0, v52, s6
	v_mul_f64 v[30:31], v[46:47], s[2:3]
	v_mul_f64 v[32:33], v[48:49], s[2:3]
	v_add_co_ci_u32_e64 v35, s0, s7, v53, s0
	s_delay_alu instid0(VALU_DEP_4) | instskip(NEXT) | instid1(VALU_DEP_1)
	v_add_co_u32 v36, s0, v34, s6
	v_add_co_ci_u32_e64 v37, s0, s7, v35, s0
	s_delay_alu instid0(VALU_DEP_2) | instskip(NEXT) | instid1(VALU_DEP_1)
	v_add_co_u32 v38, s0, v36, s4
	v_add_co_ci_u32_e64 v39, s0, s5, v37, s0
	s_delay_alu instid0(VALU_DEP_2) | instskip(NEXT) | instid1(VALU_DEP_1)
	;; [unrolled: 3-line block ×4, first 2 shown]
	v_add_co_u32 v0, s0, v42, s6
	v_add_co_ci_u32_e64 v1, s0, s7, v43, s0
	s_clause 0x4
	global_store_b128 v[50:51], v[2:5], off
	global_store_b128 v[52:53], v[6:9], off
	;; [unrolled: 1-line block ×8, first 2 shown]
	s_and_b32 exec_lo, exec_lo, vcc_lo
	s_cbranch_execz .LBB0_39
; %bb.38:
	s_clause 0x3
	global_load_b128 v[2:5], v[233:234], off offset:1536
	global_load_b128 v[6:9], v[239:240], off offset:3776
	;; [unrolled: 1-line block ×4, first 2 shown]
	ds_load_b128 v[18:21], v223 offset:5632
	ds_load_b128 v[22:25], v223 offset:11968
	;; [unrolled: 1-line block ×4, first 2 shown]
	v_add_co_u32 v0, vcc_lo, v0, s4
	v_add_co_ci_u32_e32 v1, vcc_lo, s5, v1, vcc_lo
	s_waitcnt vmcnt(3) lgkmcnt(3)
	v_mul_f64 v[34:35], v[20:21], v[4:5]
	v_mul_f64 v[4:5], v[18:19], v[4:5]
	s_waitcnt vmcnt(2) lgkmcnt(2)
	v_mul_f64 v[36:37], v[24:25], v[8:9]
	v_mul_f64 v[8:9], v[22:23], v[8:9]
	;; [unrolled: 3-line block ×4, first 2 shown]
	v_fma_f64 v[18:19], v[18:19], v[2:3], v[34:35]
	v_fma_f64 v[4:5], v[2:3], v[20:21], -v[4:5]
	v_fma_f64 v[20:21], v[22:23], v[6:7], v[36:37]
	v_fma_f64 v[8:9], v[6:7], v[24:25], -v[8:9]
	;; [unrolled: 2-line block ×4, first 2 shown]
	v_mul_f64 v[2:3], v[18:19], s[2:3]
	v_mul_f64 v[4:5], v[4:5], s[2:3]
	v_mul_f64 v[6:7], v[20:21], s[2:3]
	v_mul_f64 v[8:9], v[8:9], s[2:3]
	v_mul_f64 v[10:11], v[22:23], s[2:3]
	v_mul_f64 v[12:13], v[12:13], s[2:3]
	v_mul_f64 v[14:15], v[24:25], s[2:3]
	v_mul_f64 v[16:17], v[16:17], s[2:3]
	v_add_co_u32 v18, vcc_lo, v0, s6
	v_add_co_ci_u32_e32 v19, vcc_lo, s7, v1, vcc_lo
	s_delay_alu instid0(VALU_DEP_2) | instskip(NEXT) | instid1(VALU_DEP_2)
	v_add_co_u32 v20, vcc_lo, v18, s6
	v_add_co_ci_u32_e32 v21, vcc_lo, s7, v19, vcc_lo
	s_delay_alu instid0(VALU_DEP_2) | instskip(NEXT) | instid1(VALU_DEP_2)
	v_add_co_u32 v22, vcc_lo, v20, s6
	v_add_co_ci_u32_e32 v23, vcc_lo, s7, v21, vcc_lo
	global_store_b128 v[0:1], v[2:5], off
	global_store_b128 v[18:19], v[6:9], off
	;; [unrolled: 1-line block ×4, first 2 shown]
.LBB0_39:
	s_nop 0
	s_sendmsg sendmsg(MSG_DEALLOC_VGPRS)
	s_endpgm
	.section	.rodata,"a",@progbits
	.p2align	6, 0x0
	.amdhsa_kernel bluestein_single_fwd_len1584_dim1_dp_op_CI_CI
		.amdhsa_group_segment_fixed_size 25344
		.amdhsa_private_segment_fixed_size 84
		.amdhsa_kernarg_size 104
		.amdhsa_user_sgpr_count 15
		.amdhsa_user_sgpr_dispatch_ptr 0
		.amdhsa_user_sgpr_queue_ptr 0
		.amdhsa_user_sgpr_kernarg_segment_ptr 1
		.amdhsa_user_sgpr_dispatch_id 0
		.amdhsa_user_sgpr_private_segment_size 0
		.amdhsa_wavefront_size32 1
		.amdhsa_uses_dynamic_stack 0
		.amdhsa_enable_private_segment 1
		.amdhsa_system_sgpr_workgroup_id_x 1
		.amdhsa_system_sgpr_workgroup_id_y 0
		.amdhsa_system_sgpr_workgroup_id_z 0
		.amdhsa_system_sgpr_workgroup_info 0
		.amdhsa_system_vgpr_workitem_id 0
		.amdhsa_next_free_vgpr 256
		.amdhsa_next_free_sgpr 42
		.amdhsa_reserve_vcc 1
		.amdhsa_float_round_mode_32 0
		.amdhsa_float_round_mode_16_64 0
		.amdhsa_float_denorm_mode_32 3
		.amdhsa_float_denorm_mode_16_64 3
		.amdhsa_dx10_clamp 1
		.amdhsa_ieee_mode 1
		.amdhsa_fp16_overflow 0
		.amdhsa_workgroup_processor_mode 1
		.amdhsa_memory_ordered 1
		.amdhsa_forward_progress 0
		.amdhsa_shared_vgpr_count 0
		.amdhsa_exception_fp_ieee_invalid_op 0
		.amdhsa_exception_fp_denorm_src 0
		.amdhsa_exception_fp_ieee_div_zero 0
		.amdhsa_exception_fp_ieee_overflow 0
		.amdhsa_exception_fp_ieee_underflow 0
		.amdhsa_exception_fp_ieee_inexact 0
		.amdhsa_exception_int_div_zero 0
	.end_amdhsa_kernel
	.text
.Lfunc_end0:
	.size	bluestein_single_fwd_len1584_dim1_dp_op_CI_CI, .Lfunc_end0-bluestein_single_fwd_len1584_dim1_dp_op_CI_CI
                                        ; -- End function
	.section	.AMDGPU.csdata,"",@progbits
; Kernel info:
; codeLenInByte = 18108
; NumSgprs: 44
; NumVgprs: 256
; ScratchSize: 84
; MemoryBound: 0
; FloatMode: 240
; IeeeMode: 1
; LDSByteSize: 25344 bytes/workgroup (compile time only)
; SGPRBlocks: 5
; VGPRBlocks: 31
; NumSGPRsForWavesPerEU: 44
; NumVGPRsForWavesPerEU: 256
; Occupancy: 5
; WaveLimiterHint : 1
; COMPUTE_PGM_RSRC2:SCRATCH_EN: 1
; COMPUTE_PGM_RSRC2:USER_SGPR: 15
; COMPUTE_PGM_RSRC2:TRAP_HANDLER: 0
; COMPUTE_PGM_RSRC2:TGID_X_EN: 1
; COMPUTE_PGM_RSRC2:TGID_Y_EN: 0
; COMPUTE_PGM_RSRC2:TGID_Z_EN: 0
; COMPUTE_PGM_RSRC2:TIDIG_COMP_CNT: 0
	.text
	.p2alignl 7, 3214868480
	.fill 96, 4, 3214868480
	.type	__hip_cuid_bd341ad9163a2f9b,@object ; @__hip_cuid_bd341ad9163a2f9b
	.section	.bss,"aw",@nobits
	.globl	__hip_cuid_bd341ad9163a2f9b
__hip_cuid_bd341ad9163a2f9b:
	.byte	0                               ; 0x0
	.size	__hip_cuid_bd341ad9163a2f9b, 1

	.ident	"AMD clang version 19.0.0git (https://github.com/RadeonOpenCompute/llvm-project roc-6.4.0 25133 c7fe45cf4b819c5991fe208aaa96edf142730f1d)"
	.section	".note.GNU-stack","",@progbits
	.addrsig
	.addrsig_sym __hip_cuid_bd341ad9163a2f9b
	.amdgpu_metadata
---
amdhsa.kernels:
  - .args:
      - .actual_access:  read_only
        .address_space:  global
        .offset:         0
        .size:           8
        .value_kind:     global_buffer
      - .actual_access:  read_only
        .address_space:  global
        .offset:         8
        .size:           8
        .value_kind:     global_buffer
      - .actual_access:  read_only
        .address_space:  global
        .offset:         16
        .size:           8
        .value_kind:     global_buffer
      - .actual_access:  read_only
        .address_space:  global
        .offset:         24
        .size:           8
        .value_kind:     global_buffer
      - .actual_access:  read_only
        .address_space:  global
        .offset:         32
        .size:           8
        .value_kind:     global_buffer
      - .offset:         40
        .size:           8
        .value_kind:     by_value
      - .address_space:  global
        .offset:         48
        .size:           8
        .value_kind:     global_buffer
      - .address_space:  global
        .offset:         56
        .size:           8
        .value_kind:     global_buffer
      - .address_space:  global
        .offset:         64
        .size:           8
        .value_kind:     global_buffer
      - .address_space:  global
        .offset:         72
        .size:           8
        .value_kind:     global_buffer
      - .offset:         80
        .size:           4
        .value_kind:     by_value
      - .address_space:  global
        .offset:         88
        .size:           8
        .value_kind:     global_buffer
      - .address_space:  global
        .offset:         96
        .size:           8
        .value_kind:     global_buffer
    .group_segment_fixed_size: 25344
    .kernarg_segment_align: 8
    .kernarg_segment_size: 104
    .language:       OpenCL C
    .language_version:
      - 2
      - 0
    .max_flat_workgroup_size: 176
    .name:           bluestein_single_fwd_len1584_dim1_dp_op_CI_CI
    .private_segment_fixed_size: 84
    .sgpr_count:     44
    .sgpr_spill_count: 0
    .symbol:         bluestein_single_fwd_len1584_dim1_dp_op_CI_CI.kd
    .uniform_work_group_size: 1
    .uses_dynamic_stack: false
    .vgpr_count:     256
    .vgpr_spill_count: 20
    .wavefront_size: 32
    .workgroup_processor_mode: 1
amdhsa.target:   amdgcn-amd-amdhsa--gfx1100
amdhsa.version:
  - 1
  - 2
...

	.end_amdgpu_metadata
